;; amdgpu-corpus repo=ROCm/rocFFT kind=compiled arch=gfx906 opt=O3
	.text
	.amdgcn_target "amdgcn-amd-amdhsa--gfx906"
	.amdhsa_code_object_version 6
	.protected	fft_rtc_back_len1904_factors_17_2_2_7_4_wgs_119_tpt_119_halfLds_dp_ip_CI_sbrr_dirReg ; -- Begin function fft_rtc_back_len1904_factors_17_2_2_7_4_wgs_119_tpt_119_halfLds_dp_ip_CI_sbrr_dirReg
	.globl	fft_rtc_back_len1904_factors_17_2_2_7_4_wgs_119_tpt_119_halfLds_dp_ip_CI_sbrr_dirReg
	.p2align	8
	.type	fft_rtc_back_len1904_factors_17_2_2_7_4_wgs_119_tpt_119_halfLds_dp_ip_CI_sbrr_dirReg,@function
fft_rtc_back_len1904_factors_17_2_2_7_4_wgs_119_tpt_119_halfLds_dp_ip_CI_sbrr_dirReg: ; @fft_rtc_back_len1904_factors_17_2_2_7_4_wgs_119_tpt_119_halfLds_dp_ip_CI_sbrr_dirReg
; %bb.0:
	s_load_dwordx2 s[2:3], s[4:5], 0x18
	s_load_dwordx4 s[8:11], s[4:5], 0x0
	s_load_dwordx2 s[14:15], s[4:5], 0x50
	v_mul_u32_u24_e32 v1, 0x227, v0
	v_add_u32_sdwa v5, s6, v1 dst_sel:DWORD dst_unused:UNUSED_PAD src0_sel:DWORD src1_sel:WORD_1
	s_waitcnt lgkmcnt(0)
	s_load_dwordx2 s[12:13], s[2:3], 0x0
	v_cmp_lt_u64_e64 s[0:1], s[10:11], 2
	v_mov_b32_e32 v3, 0
	v_mov_b32_e32 v1, 0
	;; [unrolled: 1-line block ×3, first 2 shown]
	s_and_b64 vcc, exec, s[0:1]
	v_mov_b32_e32 v2, 0
	s_cbranch_vccnz .LBB0_8
; %bb.1:
	s_load_dwordx2 s[0:1], s[4:5], 0x10
	s_add_u32 s6, s2, 8
	s_addc_u32 s7, s3, 0
	v_mov_b32_e32 v1, 0
	v_mov_b32_e32 v2, 0
	s_waitcnt lgkmcnt(0)
	s_add_u32 s16, s0, 8
	s_addc_u32 s17, s1, 0
	s_mov_b64 s[18:19], 1
.LBB0_2:                                ; =>This Inner Loop Header: Depth=1
	s_load_dwordx2 s[20:21], s[16:17], 0x0
                                        ; implicit-def: $vgpr7_vgpr8
	s_waitcnt lgkmcnt(0)
	v_or_b32_e32 v4, s21, v6
	v_cmp_ne_u64_e32 vcc, 0, v[3:4]
	s_and_saveexec_b64 s[0:1], vcc
	s_xor_b64 s[22:23], exec, s[0:1]
	s_cbranch_execz .LBB0_4
; %bb.3:                                ;   in Loop: Header=BB0_2 Depth=1
	v_cvt_f32_u32_e32 v4, s20
	v_cvt_f32_u32_e32 v7, s21
	s_sub_u32 s0, 0, s20
	s_subb_u32 s1, 0, s21
	v_mac_f32_e32 v4, 0x4f800000, v7
	v_rcp_f32_e32 v4, v4
	v_mul_f32_e32 v4, 0x5f7ffffc, v4
	v_mul_f32_e32 v7, 0x2f800000, v4
	v_trunc_f32_e32 v7, v7
	v_mac_f32_e32 v4, 0xcf800000, v7
	v_cvt_u32_f32_e32 v7, v7
	v_cvt_u32_f32_e32 v4, v4
	v_mul_lo_u32 v8, s0, v7
	v_mul_hi_u32 v9, s0, v4
	v_mul_lo_u32 v11, s1, v4
	v_mul_lo_u32 v10, s0, v4
	v_add_u32_e32 v8, v9, v8
	v_add_u32_e32 v8, v8, v11
	v_mul_hi_u32 v9, v4, v10
	v_mul_lo_u32 v11, v4, v8
	v_mul_hi_u32 v13, v4, v8
	v_mul_hi_u32 v12, v7, v10
	v_mul_lo_u32 v10, v7, v10
	v_mul_hi_u32 v14, v7, v8
	v_add_co_u32_e32 v9, vcc, v9, v11
	v_addc_co_u32_e32 v11, vcc, 0, v13, vcc
	v_mul_lo_u32 v8, v7, v8
	v_add_co_u32_e32 v9, vcc, v9, v10
	v_addc_co_u32_e32 v9, vcc, v11, v12, vcc
	v_addc_co_u32_e32 v10, vcc, 0, v14, vcc
	v_add_co_u32_e32 v8, vcc, v9, v8
	v_addc_co_u32_e32 v9, vcc, 0, v10, vcc
	v_add_co_u32_e32 v4, vcc, v4, v8
	v_addc_co_u32_e32 v7, vcc, v7, v9, vcc
	v_mul_lo_u32 v8, s0, v7
	v_mul_hi_u32 v9, s0, v4
	v_mul_lo_u32 v10, s1, v4
	v_mul_lo_u32 v11, s0, v4
	v_add_u32_e32 v8, v9, v8
	v_add_u32_e32 v8, v8, v10
	v_mul_lo_u32 v12, v4, v8
	v_mul_hi_u32 v13, v4, v11
	v_mul_hi_u32 v14, v4, v8
	;; [unrolled: 1-line block ×3, first 2 shown]
	v_mul_lo_u32 v11, v7, v11
	v_mul_hi_u32 v9, v7, v8
	v_add_co_u32_e32 v12, vcc, v13, v12
	v_addc_co_u32_e32 v13, vcc, 0, v14, vcc
	v_mul_lo_u32 v8, v7, v8
	v_add_co_u32_e32 v11, vcc, v12, v11
	v_addc_co_u32_e32 v10, vcc, v13, v10, vcc
	v_addc_co_u32_e32 v9, vcc, 0, v9, vcc
	v_add_co_u32_e32 v8, vcc, v10, v8
	v_addc_co_u32_e32 v9, vcc, 0, v9, vcc
	v_add_co_u32_e32 v4, vcc, v4, v8
	v_addc_co_u32_e32 v9, vcc, v7, v9, vcc
	v_mad_u64_u32 v[7:8], s[0:1], v5, v9, 0
	v_mul_hi_u32 v10, v5, v4
	v_add_co_u32_e32 v11, vcc, v10, v7
	v_addc_co_u32_e32 v12, vcc, 0, v8, vcc
	v_mad_u64_u32 v[7:8], s[0:1], v6, v4, 0
	v_mad_u64_u32 v[9:10], s[0:1], v6, v9, 0
	v_add_co_u32_e32 v4, vcc, v11, v7
	v_addc_co_u32_e32 v4, vcc, v12, v8, vcc
	v_addc_co_u32_e32 v7, vcc, 0, v10, vcc
	v_add_co_u32_e32 v4, vcc, v4, v9
	v_addc_co_u32_e32 v9, vcc, 0, v7, vcc
	v_mul_lo_u32 v10, s21, v4
	v_mul_lo_u32 v11, s20, v9
	v_mad_u64_u32 v[7:8], s[0:1], s20, v4, 0
	v_add3_u32 v8, v8, v11, v10
	v_sub_u32_e32 v10, v6, v8
	v_mov_b32_e32 v11, s21
	v_sub_co_u32_e32 v7, vcc, v5, v7
	v_subb_co_u32_e64 v10, s[0:1], v10, v11, vcc
	v_subrev_co_u32_e64 v11, s[0:1], s20, v7
	v_subbrev_co_u32_e64 v10, s[0:1], 0, v10, s[0:1]
	v_cmp_le_u32_e64 s[0:1], s21, v10
	v_cndmask_b32_e64 v12, 0, -1, s[0:1]
	v_cmp_le_u32_e64 s[0:1], s20, v11
	v_cndmask_b32_e64 v11, 0, -1, s[0:1]
	v_cmp_eq_u32_e64 s[0:1], s21, v10
	v_cndmask_b32_e64 v10, v12, v11, s[0:1]
	v_add_co_u32_e64 v11, s[0:1], 2, v4
	v_addc_co_u32_e64 v12, s[0:1], 0, v9, s[0:1]
	v_add_co_u32_e64 v13, s[0:1], 1, v4
	v_addc_co_u32_e64 v14, s[0:1], 0, v9, s[0:1]
	v_subb_co_u32_e32 v8, vcc, v6, v8, vcc
	v_cmp_ne_u32_e64 s[0:1], 0, v10
	v_cmp_le_u32_e32 vcc, s21, v8
	v_cndmask_b32_e64 v10, v14, v12, s[0:1]
	v_cndmask_b32_e64 v12, 0, -1, vcc
	v_cmp_le_u32_e32 vcc, s20, v7
	v_cndmask_b32_e64 v7, 0, -1, vcc
	v_cmp_eq_u32_e32 vcc, s21, v8
	v_cndmask_b32_e32 v7, v12, v7, vcc
	v_cmp_ne_u32_e32 vcc, 0, v7
	v_cndmask_b32_e64 v7, v13, v11, s[0:1]
	v_cndmask_b32_e32 v8, v9, v10, vcc
	v_cndmask_b32_e32 v7, v4, v7, vcc
.LBB0_4:                                ;   in Loop: Header=BB0_2 Depth=1
	s_andn2_saveexec_b64 s[0:1], s[22:23]
	s_cbranch_execz .LBB0_6
; %bb.5:                                ;   in Loop: Header=BB0_2 Depth=1
	v_cvt_f32_u32_e32 v4, s20
	s_sub_i32 s22, 0, s20
	v_rcp_iflag_f32_e32 v4, v4
	v_mul_f32_e32 v4, 0x4f7ffffe, v4
	v_cvt_u32_f32_e32 v4, v4
	v_mul_lo_u32 v7, s22, v4
	v_mul_hi_u32 v7, v4, v7
	v_add_u32_e32 v4, v4, v7
	v_mul_hi_u32 v4, v5, v4
	v_mul_lo_u32 v7, v4, s20
	v_add_u32_e32 v8, 1, v4
	v_sub_u32_e32 v7, v5, v7
	v_subrev_u32_e32 v9, s20, v7
	v_cmp_le_u32_e32 vcc, s20, v7
	v_cndmask_b32_e32 v7, v7, v9, vcc
	v_cndmask_b32_e32 v4, v4, v8, vcc
	v_add_u32_e32 v8, 1, v4
	v_cmp_le_u32_e32 vcc, s20, v7
	v_cndmask_b32_e32 v7, v4, v8, vcc
	v_mov_b32_e32 v8, v3
.LBB0_6:                                ;   in Loop: Header=BB0_2 Depth=1
	s_or_b64 exec, exec, s[0:1]
	v_mul_lo_u32 v4, v8, s20
	v_mul_lo_u32 v11, v7, s21
	v_mad_u64_u32 v[9:10], s[0:1], v7, s20, 0
	s_load_dwordx2 s[0:1], s[6:7], 0x0
	s_add_u32 s18, s18, 1
	v_add3_u32 v4, v10, v11, v4
	v_sub_co_u32_e32 v5, vcc, v5, v9
	v_subb_co_u32_e32 v4, vcc, v6, v4, vcc
	s_waitcnt lgkmcnt(0)
	v_mul_lo_u32 v4, s0, v4
	v_mul_lo_u32 v6, s1, v5
	v_mad_u64_u32 v[1:2], s[0:1], s0, v5, v[1:2]
	s_addc_u32 s19, s19, 0
	s_add_u32 s6, s6, 8
	v_add3_u32 v2, v6, v2, v4
	v_mov_b32_e32 v4, s10
	v_mov_b32_e32 v5, s11
	s_addc_u32 s7, s7, 0
	v_cmp_ge_u64_e32 vcc, s[18:19], v[4:5]
	s_add_u32 s16, s16, 8
	s_addc_u32 s17, s17, 0
	s_cbranch_vccnz .LBB0_9
; %bb.7:                                ;   in Loop: Header=BB0_2 Depth=1
	v_mov_b32_e32 v5, v7
	v_mov_b32_e32 v6, v8
	s_branch .LBB0_2
.LBB0_8:
	v_mov_b32_e32 v8, v6
	v_mov_b32_e32 v7, v5
.LBB0_9:
	s_lshl_b64 s[0:1], s[10:11], 3
	s_add_u32 s0, s2, s0
	s_addc_u32 s1, s3, s1
	s_load_dwordx2 s[2:3], s[0:1], 0x0
	s_load_dwordx2 s[6:7], s[4:5], 0x20
                                        ; implicit-def: $vgpr62_vgpr63
                                        ; implicit-def: $vgpr58_vgpr59
                                        ; implicit-def: $vgpr50_vgpr51
                                        ; implicit-def: $vgpr46_vgpr47
                                        ; implicit-def: $vgpr30_vgpr31
                                        ; implicit-def: $vgpr26_vgpr27
                                        ; implicit-def: $vgpr10_vgpr11
                                        ; implicit-def: $vgpr14_vgpr15
                                        ; implicit-def: $vgpr18_vgpr19
                                        ; implicit-def: $vgpr22_vgpr23
                                        ; implicit-def: $vgpr34_vgpr35
                                        ; implicit-def: $vgpr38_vgpr39
                                        ; implicit-def: $vgpr42_vgpr43
                                        ; implicit-def: $vgpr54_vgpr55
                                        ; implicit-def: $vgpr66_vgpr67
	s_waitcnt lgkmcnt(0)
	v_mad_u64_u32 v[1:2], s[0:1], s2, v7, v[1:2]
	s_mov_b32 s0, 0x226b903
	v_mul_lo_u32 v3, s2, v8
	v_mul_lo_u32 v4, s3, v7
	v_mul_hi_u32 v5, v0, s0
	v_cmp_gt_u64_e32 vcc, s[6:7], v[7:8]
	s_movk_i32 s0, 0x70
	v_add3_u32 v2, v4, v2, v3
	v_mul_u32_u24_e32 v3, 0x77, v5
	v_sub_u32_e32 v128, v0, v3
	v_cmp_gt_u32_e64 s[0:1], s0, v128
	v_lshlrev_b64 v[108:109], 4, v[1:2]
	s_and_b64 s[2:3], vcc, s[0:1]
                                        ; implicit-def: $vgpr6_vgpr7
                                        ; implicit-def: $vgpr2_vgpr3
	s_and_saveexec_b64 s[4:5], s[2:3]
	s_cbranch_execz .LBB0_11
; %bb.10:
	v_mad_u64_u32 v[0:1], s[2:3], s12, v128, 0
	v_add_u32_e32 v5, 0x70, v128
	v_mov_b32_e32 v4, s15
	v_mad_u64_u32 v[1:2], s[2:3], s13, v128, v[1:2]
	v_mad_u64_u32 v[2:3], s[2:3], s12, v5, 0
	v_add_co_u32_e64 v8, s[2:3], s14, v108
	v_addc_co_u32_e64 v9, s[2:3], v4, v109, s[2:3]
	v_mad_u64_u32 v[3:4], s[2:3], s13, v5, v[3:4]
	v_add_u32_e32 v6, 0xe0, v128
	v_mad_u64_u32 v[4:5], s[2:3], s12, v6, 0
	v_lshlrev_b64 v[0:1], 4, v[0:1]
	v_add_co_u32_e64 v12, s[2:3], v8, v0
	v_addc_co_u32_e64 v13, s[2:3], v9, v1, s[2:3]
	v_lshlrev_b64 v[0:1], 4, v[2:3]
	v_mov_b32_e32 v2, v5
	v_mad_u64_u32 v[2:3], s[2:3], s13, v6, v[2:3]
	v_add_u32_e32 v3, 0x150, v128
	v_mad_u64_u32 v[6:7], s[2:3], s12, v3, 0
	v_add_co_u32_e64 v14, s[2:3], v8, v0
	v_mov_b32_e32 v5, v2
	v_mov_b32_e32 v2, v7
	v_addc_co_u32_e64 v15, s[2:3], v9, v1, s[2:3]
	v_lshlrev_b64 v[0:1], 4, v[4:5]
	v_mad_u64_u32 v[2:3], s[2:3], s13, v3, v[2:3]
	v_add_u32_e32 v5, 0x1c0, v128
	v_mad_u64_u32 v[3:4], s[2:3], s12, v5, 0
	v_add_co_u32_e64 v16, s[2:3], v8, v0
	v_mov_b32_e32 v7, v2
	v_mov_b32_e32 v2, v4
	v_addc_co_u32_e64 v17, s[2:3], v9, v1, s[2:3]
	v_lshlrev_b64 v[0:1], 4, v[6:7]
	v_mad_u64_u32 v[4:5], s[2:3], s13, v5, v[2:3]
	v_add_u32_e32 v7, 0x230, v128
	v_mad_u64_u32 v[5:6], s[2:3], s12, v7, 0
	v_add_co_u32_e64 v18, s[2:3], v8, v0
	v_mov_b32_e32 v2, v6
	v_addc_co_u32_e64 v19, s[2:3], v9, v1, s[2:3]
	v_lshlrev_b64 v[0:1], 4, v[3:4]
	v_mad_u64_u32 v[2:3], s[2:3], s13, v7, v[2:3]
	v_add_u32_e32 v7, 0x2a0, v128
	v_mad_u64_u32 v[3:4], s[2:3], s12, v7, 0
	v_add_co_u32_e64 v68, s[2:3], v8, v0
	v_mov_b32_e32 v6, v2
	v_mov_b32_e32 v2, v4
	v_addc_co_u32_e64 v69, s[2:3], v9, v1, s[2:3]
	v_lshlrev_b64 v[0:1], 4, v[5:6]
	v_mad_u64_u32 v[4:5], s[2:3], s13, v7, v[2:3]
	v_add_u32_e32 v7, 0x310, v128
	v_mad_u64_u32 v[5:6], s[2:3], s12, v7, 0
	v_add_co_u32_e64 v70, s[2:3], v8, v0
	v_mov_b32_e32 v2, v6
	v_addc_co_u32_e64 v71, s[2:3], v9, v1, s[2:3]
	v_lshlrev_b64 v[0:1], 4, v[3:4]
	v_mad_u64_u32 v[2:3], s[2:3], s13, v7, v[2:3]
	v_or_b32_e32 v7, 0x380, v128
	v_mad_u64_u32 v[3:4], s[2:3], s12, v7, 0
	v_add_co_u32_e64 v72, s[2:3], v8, v0
	v_mov_b32_e32 v6, v2
	v_mov_b32_e32 v2, v4
	v_addc_co_u32_e64 v73, s[2:3], v9, v1, s[2:3]
	v_lshlrev_b64 v[0:1], 4, v[5:6]
	v_mad_u64_u32 v[4:5], s[2:3], s13, v7, v[2:3]
	v_add_u32_e32 v7, 0x3f0, v128
	v_mad_u64_u32 v[5:6], s[2:3], s12, v7, 0
	v_add_co_u32_e64 v74, s[2:3], v8, v0
	v_mov_b32_e32 v2, v6
	v_addc_co_u32_e64 v75, s[2:3], v9, v1, s[2:3]
	v_lshlrev_b64 v[0:1], 4, v[3:4]
	v_mad_u64_u32 v[2:3], s[2:3], s13, v7, v[2:3]
	v_add_u32_e32 v7, 0x460, v128
	v_mad_u64_u32 v[3:4], s[2:3], s12, v7, 0
	v_add_co_u32_e64 v76, s[2:3], v8, v0
	v_mov_b32_e32 v6, v2
	v_mov_b32_e32 v2, v4
	v_addc_co_u32_e64 v77, s[2:3], v9, v1, s[2:3]
	v_lshlrev_b64 v[0:1], 4, v[5:6]
	v_mad_u64_u32 v[4:5], s[2:3], s13, v7, v[2:3]
	v_add_u32_e32 v7, 0x4d0, v128
	v_mad_u64_u32 v[5:6], s[2:3], s12, v7, 0
	v_add_co_u32_e64 v78, s[2:3], v8, v0
	v_mov_b32_e32 v2, v6
	v_addc_co_u32_e64 v79, s[2:3], v9, v1, s[2:3]
	v_lshlrev_b64 v[0:1], 4, v[3:4]
	v_mad_u64_u32 v[2:3], s[2:3], s13, v7, v[2:3]
	v_add_u32_e32 v7, 0x540, v128
	;; [unrolled: 15-line block ×3, first 2 shown]
	v_mad_u64_u32 v[3:4], s[2:3], s12, v7, 0
	v_add_co_u32_e64 v84, s[2:3], v8, v0
	v_mov_b32_e32 v6, v2
	v_mov_b32_e32 v2, v4
	v_addc_co_u32_e64 v85, s[2:3], v9, v1, s[2:3]
	v_lshlrev_b64 v[0:1], 4, v[5:6]
	v_mad_u64_u32 v[4:5], s[2:3], s13, v7, v[2:3]
	v_add_u32_e32 v7, 0x690, v128
	v_mad_u64_u32 v[5:6], s[2:3], s12, v7, 0
	v_add_co_u32_e64 v86, s[2:3], v8, v0
	v_mov_b32_e32 v2, v6
	v_addc_co_u32_e64 v87, s[2:3], v9, v1, s[2:3]
	v_lshlrev_b64 v[0:1], 4, v[3:4]
	v_mad_u64_u32 v[2:3], s[2:3], s13, v7, v[2:3]
	v_or_b32_e32 v7, 0x700, v128
	v_mad_u64_u32 v[3:4], s[2:3], s12, v7, 0
	v_add_co_u32_e64 v88, s[2:3], v8, v0
	v_mov_b32_e32 v6, v2
	v_mov_b32_e32 v2, v4
	v_addc_co_u32_e64 v89, s[2:3], v9, v1, s[2:3]
	v_lshlrev_b64 v[0:1], 4, v[5:6]
	v_mad_u64_u32 v[4:5], s[2:3], s13, v7, v[2:3]
	v_add_co_u32_e64 v90, s[2:3], v8, v0
	v_addc_co_u32_e64 v91, s[2:3], v9, v1, s[2:3]
	v_lshlrev_b64 v[0:1], 4, v[3:4]
	v_add_co_u32_e64 v92, s[2:3], v8, v0
	v_addc_co_u32_e64 v93, s[2:3], v9, v1, s[2:3]
	global_load_dwordx4 v[0:3], v[12:13], off
	global_load_dwordx4 v[60:63], v[14:15], off
	;; [unrolled: 1-line block ×15, first 2 shown]
                                        ; kill: killed $vgpr88 killed $vgpr89
                                        ; kill: killed $vgpr72 killed $vgpr73
                                        ; kill: killed $vgpr74 killed $vgpr75
                                        ; kill: killed $vgpr76 killed $vgpr77
                                        ; kill: killed $vgpr12 killed $vgpr13
                                        ; kill: killed $vgpr78 killed $vgpr79
                                        ; kill: killed $vgpr14 killed $vgpr15
                                        ; kill: killed $vgpr80 killed $vgpr81
                                        ; kill: killed $vgpr16 killed $vgpr17
                                        ; kill: killed $vgpr82 killed $vgpr83
                                        ; kill: killed $vgpr18 killed $vgpr19
                                        ; kill: killed $vgpr84 killed $vgpr85
                                        ; kill: killed $vgpr68 killed $vgpr69
                                        ; kill: killed $vgpr86 killed $vgpr87
                                        ; kill: killed $vgpr70 killed $vgpr71
	global_load_dwordx4 v[16:19], v[90:91], off
	global_load_dwordx4 v[12:15], v[92:93], off
.LBB0_11:
	s_or_b64 exec, exec, s[4:5]
	s_waitcnt vmcnt(0)
	v_add_f64 v[68:69], v[62:63], -v[14:15]
	s_mov_b32 s16, 0x5d8e7cdc
	s_mov_b32 s17, 0xbfd71e95
	v_add_f64 v[70:71], v[60:61], v[12:13]
	v_add_f64 v[72:73], v[58:59], -v[18:19]
	s_mov_b32 s2, 0x370991
	s_mov_b32 s20, 0x2a9d6da3
	;; [unrolled: 1-line block ×3, first 2 shown]
	v_mul_f64 v[74:75], v[68:69], s[16:17]
	s_mov_b32 s21, 0xbfe58eea
	v_add_f64 v[76:77], v[56:57], v[16:17]
	v_add_f64 v[78:79], v[66:67], -v[6:7]
	v_mul_f64 v[80:81], v[72:73], s[20:21]
	s_mov_b32 s4, 0x75d4884
	s_mov_b32 s24, 0x7c9e640b
	;; [unrolled: 1-line block ×3, first 2 shown]
	v_fma_f64 v[88:89], v[70:71], s[2:3], -v[74:75]
	s_mov_b32 s25, 0xbfeca52d
	v_add_f64 v[82:83], v[4:5], v[64:65]
	v_add_f64 v[84:85], v[54:55], -v[10:11]
	v_mul_f64 v[86:87], v[78:79], s[24:25]
	v_fma_f64 v[94:95], v[76:77], s[4:5], -v[80:81]
	s_mov_b32 s6, 0x2b2883cd
	s_mov_b32 s28, 0xeb564b22
	v_add_f64 v[96:97], v[88:89], v[0:1]
	s_mov_b32 s7, 0x3fdc86fa
	s_mov_b32 s29, 0xbfefdd0d
	v_add_f64 v[88:89], v[8:9], v[52:53]
	v_add_f64 v[90:91], v[50:51], -v[22:23]
	v_mul_f64 v[92:93], v[84:85], s[28:29]
	v_fma_f64 v[98:99], v[82:83], s[6:7], -v[86:87]
	s_mov_b32 s10, 0x3259b75e
	v_add_f64 v[100:101], v[94:95], v[96:97]
	s_mov_b32 s34, 0x923c349f
	s_mov_b32 s11, 0x3fb79ee6
	;; [unrolled: 1-line block ×3, first 2 shown]
	v_add_f64 v[94:95], v[46:47], -v[34:35]
	v_add_f64 v[104:105], v[48:49], v[20:21]
	v_mul_f64 v[96:97], v[90:91], s[34:35]
	v_fma_f64 v[106:107], v[88:89], s[10:11], -v[92:93]
	v_add_f64 v[110:111], v[98:99], v[100:101]
	s_mov_b32 s36, 0x6c9a05f6
	s_mov_b32 s18, 0xc61f0d01
	;; [unrolled: 1-line block ×4, first 2 shown]
	v_add_f64 v[100:101], v[44:45], v[32:33]
	v_mul_f64 v[102:103], v[94:95], s[36:37]
	v_add_f64 v[98:99], v[42:43], -v[26:27]
	v_add_f64 v[106:107], v[106:107], v[110:111]
	v_fma_f64 v[110:111], v[104:105], s[18:19], -v[96:97]
	s_mov_b32 s22, 0x6ed5f1bb
	s_mov_b32 s38, 0x4363dd80
	;; [unrolled: 1-line block ×4, first 2 shown]
	v_fma_f64 v[116:117], v[100:101], s[22:23], -v[102:103]
	v_add_f64 v[112:113], v[24:25], v[40:41]
	v_mul_f64 v[114:115], v[98:99], s[38:39]
	v_add_f64 v[110:111], v[110:111], v[106:107]
	v_add_f64 v[106:107], v[38:39], -v[30:31]
	s_mov_b32 s26, 0x910ea3b9
	s_mov_b32 s40, 0xacd6c6b4
	;; [unrolled: 1-line block ×5, first 2 shown]
	v_fma_f64 v[120:121], v[112:113], s[26:27], -v[114:115]
	v_add_f64 v[110:111], v[116:117], v[110:111]
	v_add_f64 v[116:117], v[28:29], v[36:37]
	v_mul_f64 v[118:119], v[106:107], s[40:41]
	s_mov_b32 s31, 0xbfef7484
	v_add_f64 v[110:111], v[120:121], v[110:111]
	v_fma_f64 v[120:121], v[116:117], s[30:31], -v[118:119]
	v_add_f64 v[110:111], v[120:121], v[110:111]
	s_and_saveexec_b64 s[42:43], s[0:1]
	s_cbranch_execz .LBB0_13
; %bb.12:
	v_mul_f64 v[120:121], v[70:71], s[30:31]
	s_mov_b32 s49, 0x3fc7851a
	s_mov_b32 s48, s40
	v_mul_f64 v[122:123], v[76:77], s[2:3]
	s_mov_b32 s45, 0x3fd71e95
	s_mov_b32 s44, s16
	v_mul_f64 v[124:125], v[70:71], s[26:27]
	v_mul_f64 v[131:132], v[82:83], s[26:27]
	v_fma_f64 v[126:127], v[68:69], s[48:49], v[120:121]
	v_fma_f64 v[120:121], v[68:69], s[40:41], v[120:121]
	s_mov_b32 s47, 0x3fe0d888
	v_fma_f64 v[133:134], v[72:73], s[16:17], v[122:123]
	v_fma_f64 v[122:123], v[72:73], s[44:45], v[122:123]
	s_mov_b32 s46, s38
	v_mul_f64 v[129:130], v[76:77], s[6:7]
	v_fma_f64 v[135:136], v[68:69], s[46:47], v[124:125]
	v_add_f64 v[126:127], v[126:127], v[0:1]
	v_add_f64 v[120:121], v[120:121], v[0:1]
	v_mul_f64 v[139:140], v[88:89], s[4:5]
	v_fma_f64 v[143:144], v[78:79], s[46:47], v[131:132]
	v_fma_f64 v[131:132], v[78:79], s[38:39], v[131:132]
	s_mov_b32 s53, 0x3fe58eea
	s_mov_b32 s52, s20
	v_mul_f64 v[137:138], v[82:83], s[10:11]
	v_add_f64 v[126:127], v[133:134], v[126:127]
	v_add_f64 v[120:121], v[122:123], v[120:121]
	v_fma_f64 v[141:142], v[72:73], s[24:25], v[129:130]
	v_add_f64 v[135:136], v[135:136], v[0:1]
	v_fma_f64 v[133:134], v[84:85], s[20:21], v[139:140]
	v_fma_f64 v[139:140], v[84:85], s[52:53], v[139:140]
	s_mov_b32 s51, 0x3fefdd0d
	s_mov_b32 s50, s28
	v_add_f64 v[126:127], v[143:144], v[126:127]
	v_add_f64 v[120:121], v[131:132], v[120:121]
	v_mul_f64 v[131:132], v[104:105], s[22:23]
	s_mov_b32 s57, 0x3fe9895b
	s_mov_b32 s56, s36
	v_fma_f64 v[122:123], v[78:79], s[50:51], v[137:138]
	v_add_f64 v[135:136], v[141:142], v[135:136]
	v_mul_f64 v[141:142], v[88:89], s[22:23]
	v_mul_f64 v[143:144], v[100:101], s[6:7]
	v_add_f64 v[126:127], v[133:134], v[126:127]
	v_fma_f64 v[145:146], v[90:91], s[56:57], v[131:132]
	v_fma_f64 v[131:132], v[90:91], s[36:37], v[131:132]
	v_add_f64 v[120:121], v[139:140], v[120:121]
	s_mov_b32 s55, 0x3feca52d
	s_mov_b32 s54, s24
	v_fma_f64 v[133:134], v[84:85], s[36:37], v[141:142]
	v_fma_f64 v[147:148], v[94:95], s[24:25], v[143:144]
	v_add_f64 v[122:123], v[122:123], v[135:136]
	v_add_f64 v[126:127], v[145:146], v[126:127]
	v_mul_f64 v[135:136], v[112:113], s[18:19]
	v_fma_f64 v[139:140], v[94:95], s[54:55], v[143:144]
	v_fma_f64 v[124:125], v[68:69], s[38:39], v[124:125]
	v_add_f64 v[120:121], v[131:132], v[120:121]
	s_mov_b32 s59, 0x3feec746
	s_mov_b32 s58, s34
	v_add_f64 v[122:123], v[133:134], v[122:123]
	v_add_f64 v[126:127], v[147:148], v[126:127]
	v_fma_f64 v[131:132], v[98:99], s[58:59], v[135:136]
	v_mul_f64 v[133:134], v[70:71], s[22:23]
	v_mul_f64 v[143:144], v[104:105], s[2:3]
	v_fma_f64 v[129:130], v[72:73], s[54:55], v[129:130]
	v_add_f64 v[124:125], v[124:125], v[0:1]
	v_add_f64 v[120:121], v[139:140], v[120:121]
	v_fma_f64 v[135:136], v[98:99], s[34:35], v[135:136]
	v_mul_f64 v[139:140], v[116:117], s[10:11]
	v_add_f64 v[126:127], v[131:132], v[126:127]
	v_fma_f64 v[131:132], v[68:69], s[56:57], v[133:134]
	v_mul_f64 v[145:146], v[76:77], s[18:19]
	v_fma_f64 v[147:148], v[90:91], s[44:45], v[143:144]
	v_add_f64 v[124:125], v[129:130], v[124:125]
	v_fma_f64 v[129:130], v[78:79], s[28:29], v[137:138]
	v_add_f64 v[135:136], v[135:136], v[120:121]
	v_fma_f64 v[120:121], v[106:107], s[28:29], v[139:140]
	v_mul_f64 v[137:138], v[100:101], s[30:31]
	v_add_f64 v[131:132], v[131:132], v[0:1]
	v_fma_f64 v[149:150], v[72:73], s[34:35], v[145:146]
	v_mul_f64 v[151:152], v[82:83], s[2:3]
	v_add_f64 v[147:148], v[147:148], v[122:123]
	v_add_f64 v[122:123], v[129:130], v[124:125]
	v_fma_f64 v[124:125], v[84:85], s[56:57], v[141:142]
	v_add_f64 v[120:121], v[120:121], v[126:127]
	v_fma_f64 v[126:127], v[106:107], s[50:51], v[139:140]
	v_fma_f64 v[129:130], v[94:95], s[48:49], v[137:138]
	v_add_f64 v[131:132], v[149:150], v[131:132]
	v_fma_f64 v[139:140], v[78:79], s[44:45], v[151:152]
	v_mul_f64 v[141:142], v[88:89], s[26:27]
	v_mul_f64 v[149:150], v[112:113], s[4:5]
	v_add_f64 v[124:125], v[124:125], v[122:123]
	v_fma_f64 v[143:144], v[90:91], s[16:17], v[143:144]
	v_add_f64 v[122:123], v[126:127], v[135:136]
	v_add_f64 v[126:127], v[129:130], v[147:148]
	v_fma_f64 v[129:130], v[68:69], s[36:37], v[133:134]
	v_add_f64 v[131:132], v[139:140], v[131:132]
	v_fma_f64 v[133:134], v[84:85], s[46:47], v[141:142]
	v_mul_f64 v[135:136], v[104:105], s[10:11]
	v_fma_f64 v[139:140], v[98:99], s[20:21], v[149:150]
	v_add_f64 v[124:125], v[143:144], v[124:125]
	v_fma_f64 v[143:144], v[72:73], s[58:59], v[145:146]
	v_fma_f64 v[137:138], v[94:95], s[40:41], v[137:138]
	v_add_f64 v[129:130], v[129:130], v[0:1]
	v_mul_f64 v[145:146], v[116:117], s[18:19]
	v_add_f64 v[131:132], v[133:134], v[131:132]
	v_fma_f64 v[133:134], v[90:91], s[28:29], v[135:136]
	v_mul_f64 v[147:148], v[100:101], s[4:5]
	v_add_f64 v[126:127], v[139:140], v[126:127]
	v_fma_f64 v[139:140], v[78:79], s[16:17], v[151:152]
	v_add_f64 v[124:125], v[137:138], v[124:125]
	v_add_f64 v[129:130], v[143:144], v[129:130]
	v_fma_f64 v[137:138], v[98:99], s[52:53], v[149:150]
	v_fma_f64 v[143:144], v[106:107], s[58:59], v[145:146]
	v_add_f64 v[131:132], v[133:134], v[131:132]
	v_fma_f64 v[133:134], v[94:95], s[52:53], v[147:148]
	v_mul_f64 v[149:150], v[112:113], s[30:31]
	v_mul_f64 v[151:152], v[70:71], s[18:19]
	v_fma_f64 v[145:146], v[106:107], s[34:35], v[145:146]
	v_add_f64 v[129:130], v[139:140], v[129:130]
	v_fma_f64 v[139:140], v[84:85], s[38:39], v[141:142]
	v_add_f64 v[137:138], v[137:138], v[124:125]
	v_add_f64 v[124:125], v[143:144], v[126:127]
	;; [unrolled: 1-line block ×3, first 2 shown]
	v_fma_f64 v[133:134], v[98:99], s[48:49], v[149:150]
	v_fma_f64 v[141:142], v[68:69], s[58:59], v[151:152]
	v_mul_f64 v[143:144], v[76:77], s[26:27]
	v_fma_f64 v[135:136], v[90:91], s[50:51], v[135:136]
	v_add_f64 v[129:130], v[139:140], v[129:130]
	v_fma_f64 v[139:140], v[68:69], s[34:35], v[151:152]
	v_add_f64 v[126:127], v[145:146], v[137:138]
	v_mul_f64 v[137:138], v[116:117], s[6:7]
	v_add_f64 v[131:132], v[133:134], v[131:132]
	v_add_f64 v[133:134], v[141:142], v[0:1]
	v_fma_f64 v[141:142], v[72:73], s[38:39], v[143:144]
	v_mul_f64 v[145:146], v[82:83], s[4:5]
	v_fma_f64 v[143:144], v[72:73], s[46:47], v[143:144]
	v_add_f64 v[139:140], v[139:140], v[0:1]
	v_add_f64 v[129:130], v[135:136], v[129:130]
	v_fma_f64 v[151:152], v[106:107], s[24:25], v[137:138]
	v_fma_f64 v[135:136], v[94:95], s[20:21], v[147:148]
	v_mul_f64 v[147:148], v[70:71], s[10:11]
	v_add_f64 v[133:134], v[141:142], v[133:134]
	v_fma_f64 v[141:142], v[78:79], s[20:21], v[145:146]
	v_mul_f64 v[153:154], v[88:89], s[6:7]
	v_add_f64 v[139:140], v[143:144], v[139:140]
	v_fma_f64 v[143:144], v[78:79], s[52:53], v[145:146]
	v_add_f64 v[131:132], v[151:152], v[131:132]
	v_add_f64 v[129:130], v[135:136], v[129:130]
	v_fma_f64 v[135:136], v[68:69], s[50:51], v[147:148]
	v_mul_f64 v[145:146], v[76:77], s[30:31]
	v_add_f64 v[133:134], v[141:142], v[133:134]
	v_fma_f64 v[141:142], v[84:85], s[54:55], v[153:154]
	v_mul_f64 v[151:152], v[104:105], s[30:31]
	v_add_f64 v[139:140], v[143:144], v[139:140]
	v_fma_f64 v[143:144], v[84:85], s[24:25], v[153:154]
	v_fma_f64 v[149:150], v[98:99], s[40:41], v[149:150]
	v_add_f64 v[135:136], v[135:136], v[0:1]
	v_fma_f64 v[153:154], v[72:73], s[48:49], v[145:146]
	v_mul_f64 v[155:156], v[82:83], s[18:19]
	v_add_f64 v[133:134], v[141:142], v[133:134]
	v_fma_f64 v[141:142], v[90:91], s[48:49], v[151:152]
	v_mul_f64 v[157:158], v[100:101], s[10:11]
	v_add_f64 v[139:140], v[143:144], v[139:140]
	v_fma_f64 v[143:144], v[90:91], s[40:41], v[151:152]
	v_add_f64 v[129:130], v[149:150], v[129:130]
	v_add_f64 v[135:136], v[153:154], v[135:136]
	v_fma_f64 v[149:150], v[78:79], s[34:35], v[155:156]
	v_mul_f64 v[151:152], v[88:89], s[2:3]
	v_add_f64 v[133:134], v[141:142], v[133:134]
	v_fma_f64 v[141:142], v[94:95], s[28:29], v[157:158]
	v_mul_f64 v[153:154], v[112:113], s[2:3]
	;; [unrolled: 3-line block ×3, first 2 shown]
	v_add_f64 v[135:136], v[149:150], v[135:136]
	v_fma_f64 v[149:150], v[84:85], s[16:17], v[151:152]
	v_fma_f64 v[147:148], v[68:69], s[28:29], v[147:148]
	v_add_f64 v[133:134], v[141:142], v[133:134]
	v_fma_f64 v[141:142], v[98:99], s[44:45], v[153:154]
	v_mul_f64 v[159:160], v[116:117], s[22:23]
	v_add_f64 v[139:140], v[143:144], v[139:140]
	v_fma_f64 v[143:144], v[98:99], s[16:17], v[153:154]
	v_fma_f64 v[137:138], v[106:107], s[54:55], v[137:138]
	v_add_f64 v[135:136], v[149:150], v[135:136]
	v_fma_f64 v[149:150], v[90:91], s[54:55], v[157:158]
	v_mul_f64 v[153:154], v[100:101], s[26:27]
	v_fma_f64 v[145:146], v[72:73], s[40:41], v[145:146]
	v_add_f64 v[147:148], v[147:148], v[0:1]
	v_add_f64 v[133:134], v[141:142], v[133:134]
	v_fma_f64 v[141:142], v[106:107], s[56:57], v[159:160]
	v_add_f64 v[139:140], v[143:144], v[139:140]
	v_mul_f64 v[143:144], v[70:71], s[6:7]
	v_add_f64 v[135:136], v[149:150], v[135:136]
	v_fma_f64 v[149:150], v[94:95], s[46:47], v[153:154]
	v_add_f64 v[129:130], v[137:138], v[129:130]
	v_add_f64 v[145:146], v[145:146], v[147:148]
	v_fma_f64 v[147:148], v[78:79], s[58:59], v[155:156]
	v_mul_f64 v[137:138], v[76:77], s[22:23]
	v_add_f64 v[133:134], v[141:142], v[133:134]
	v_fma_f64 v[155:156], v[68:69], s[24:25], v[143:144]
	v_fma_f64 v[141:142], v[68:69], s[54:55], v[143:144]
	v_add_f64 v[135:136], v[149:150], v[135:136]
	v_fma_f64 v[159:160], v[106:107], s[36:37], v[159:160]
	v_mul_f64 v[161:162], v[112:113], s[10:11]
	v_add_f64 v[143:144], v[147:148], v[145:146]
	v_fma_f64 v[147:148], v[72:73], s[36:37], v[137:138]
	v_fma_f64 v[137:138], v[72:73], s[56:57], v[137:138]
	v_add_f64 v[149:150], v[155:156], v[0:1]
	v_add_f64 v[141:142], v[141:142], v[0:1]
	;; [unrolled: 1-line block ×4, first 2 shown]
	v_fma_f64 v[145:146], v[84:85], s[44:45], v[151:152]
	v_mul_f64 v[151:152], v[82:83], s[30:31]
	v_mul_f64 v[159:160], v[112:113], s[22:23]
	;; [unrolled: 1-line block ×3, first 2 shown]
	v_add_f64 v[147:148], v[147:148], v[149:150]
	v_add_f64 v[137:138], v[137:138], v[141:142]
	;; [unrolled: 1-line block ×3, first 2 shown]
	v_mul_f64 v[82:83], v[82:83], s[6:7]
	v_add_f64 v[143:144], v[145:146], v[143:144]
	v_fma_f64 v[145:146], v[90:91], s[24:25], v[157:158]
	v_fma_f64 v[149:150], v[78:79], s[48:49], v[151:152]
	v_mul_f64 v[157:158], v[88:89], s[18:19]
	v_fma_f64 v[151:152], v[78:79], s[40:41], v[151:152]
	v_fma_f64 v[155:156], v[98:99], s[36:37], v[159:160]
	v_add_f64 v[141:142], v[64:65], v[141:142]
	v_fma_f64 v[159:160], v[98:99], s[56:57], v[159:160]
	s_movk_i32 s33, 0x88
	v_add_f64 v[143:144], v[145:146], v[143:144]
	v_fma_f64 v[145:146], v[94:95], s[38:39], v[153:154]
	v_add_f64 v[147:148], v[149:150], v[147:148]
	v_fma_f64 v[149:150], v[84:85], s[58:59], v[157:158]
	v_mul_f64 v[153:154], v[104:105], s[4:5]
	v_add_f64 v[141:142], v[52:53], v[141:142]
	v_add_f64 v[137:138], v[151:152], v[137:138]
	v_fma_f64 v[151:152], v[84:85], s[34:35], v[157:158]
	v_add_f64 v[135:136], v[155:156], v[135:136]
	v_mul_f64 v[155:156], v[70:71], s[4:5]
	v_add_f64 v[143:144], v[145:146], v[143:144]
	v_add_f64 v[145:146], v[149:150], v[147:148]
	v_fma_f64 v[147:148], v[90:91], s[52:53], v[153:154]
	v_add_f64 v[141:142], v[48:49], v[141:142]
	v_mul_f64 v[149:150], v[100:101], s[2:3]
	v_add_f64 v[137:138], v[151:152], v[137:138]
	v_fma_f64 v[151:152], v[90:91], s[20:21], v[153:154]
	v_fma_f64 v[153:154], v[68:69], s[52:53], v[155:156]
	v_mul_f64 v[157:158], v[76:77], s[10:11]
	v_mul_f64 v[70:71], v[70:71], s[2:3]
	v_add_f64 v[145:146], v[147:148], v[145:146]
	v_add_f64 v[141:142], v[44:45], v[141:142]
	v_fma_f64 v[147:148], v[94:95], s[16:17], v[149:150]
	v_fma_f64 v[68:69], v[68:69], s[20:21], v[155:156]
	v_add_f64 v[137:138], v[151:152], v[137:138]
	v_add_f64 v[151:152], v[153:154], v[0:1]
	v_fma_f64 v[153:154], v[72:73], s[50:51], v[157:158]
	v_mul_f64 v[76:77], v[76:77], s[4:5]
	v_add_f64 v[70:71], v[74:75], v[70:71]
	v_add_f64 v[141:142], v[40:41], v[141:142]
	;; [unrolled: 1-line block ×3, first 2 shown]
	v_fma_f64 v[147:148], v[98:99], s[28:29], v[161:162]
	v_mul_f64 v[74:75], v[88:89], s[30:31]
	v_fma_f64 v[72:73], v[72:73], s[28:29], v[157:158]
	v_add_f64 v[151:152], v[153:154], v[151:152]
	v_fma_f64 v[153:154], v[78:79], s[56:57], v[163:164]
	v_add_f64 v[68:69], v[68:69], v[0:1]
	v_add_f64 v[141:142], v[36:37], v[141:142]
	;; [unrolled: 1-line block ×5, first 2 shown]
	v_fma_f64 v[70:71], v[84:85], s[48:49], v[74:75]
	v_mul_f64 v[80:81], v[104:105], s[26:27]
	v_add_f64 v[147:148], v[153:154], v[151:152]
	v_fma_f64 v[78:79], v[78:79], s[36:37], v[163:164]
	v_add_f64 v[141:142], v[28:29], v[141:142]
	v_add_f64 v[68:69], v[72:73], v[68:69]
	;; [unrolled: 1-line block ×3, first 2 shown]
	v_mul_f64 v[82:83], v[88:89], s[10:11]
	v_add_f64 v[0:1], v[76:77], v[0:1]
	v_fma_f64 v[76:77], v[90:91], s[38:39], v[80:81]
	v_add_f64 v[70:71], v[70:71], v[147:148]
	v_fma_f64 v[74:75], v[84:85], s[40:41], v[74:75]
	v_add_f64 v[84:85], v[24:25], v[141:142]
	v_add_f64 v[68:69], v[78:79], v[68:69]
	v_mul_f64 v[78:79], v[104:105], s[18:19]
	v_add_f64 v[82:83], v[92:93], v[82:83]
	v_add_f64 v[0:1], v[72:73], v[0:1]
	v_mul_f64 v[72:73], v[100:101], s[18:19]
	v_add_f64 v[70:71], v[76:77], v[70:71]
	v_fma_f64 v[76:77], v[90:91], s[46:47], v[80:81]
	v_add_f64 v[80:81], v[32:33], v[84:85]
	v_add_f64 v[68:69], v[74:75], v[68:69]
	;; [unrolled: 1-line block ×3, first 2 shown]
	v_mul_f64 v[78:79], v[100:101], s[22:23]
	v_add_f64 v[0:1], v[82:83], v[0:1]
	v_fma_f64 v[82:83], v[94:95], s[34:35], v[72:73]
	v_fma_f64 v[72:73], v[94:95], s[58:59], v[72:73]
	v_mul_f64 v[84:85], v[112:113], s[6:7]
	v_add_f64 v[80:81], v[20:21], v[80:81]
	v_add_f64 v[68:69], v[76:77], v[68:69]
	v_mul_f64 v[76:77], v[112:113], s[26:27]
	v_add_f64 v[78:79], v[102:103], v[78:79]
	v_add_f64 v[0:1], v[74:75], v[0:1]
	v_fma_f64 v[149:150], v[94:95], s[44:45], v[149:150]
	v_add_f64 v[70:71], v[82:83], v[70:71]
	v_fma_f64 v[82:83], v[98:99], s[54:55], v[84:85]
	v_add_f64 v[80:81], v[8:9], v[80:81]
	v_add_f64 v[68:69], v[72:73], v[68:69]
	;; [unrolled: 1-line block ×3, first 2 shown]
	v_mul_f64 v[76:77], v[116:117], s[30:31]
	v_add_f64 v[0:1], v[78:79], v[0:1]
	v_mul_f64 v[86:87], v[116:117], s[26:27]
	v_mul_f64 v[88:89], v[116:117], s[2:3]
	;; [unrolled: 1-line block ×3, first 2 shown]
	v_add_f64 v[80:81], v[4:5], v[80:81]
	v_add_f64 v[137:138], v[149:150], v[137:138]
	v_fma_f64 v[74:75], v[98:99], s[50:51], v[161:162]
	v_fma_f64 v[84:85], v[98:99], s[24:25], v[84:85]
	v_add_f64 v[76:77], v[118:119], v[76:77]
	v_add_f64 v[0:1], v[72:73], v[0:1]
	;; [unrolled: 1-line block ×3, first 2 shown]
	v_fma_f64 v[82:83], v[106:107], s[38:39], v[86:87]
	v_add_f64 v[80:81], v[16:17], v[80:81]
	v_fma_f64 v[90:91], v[106:107], s[44:45], v[88:89]
	v_add_f64 v[143:144], v[159:160], v[143:144]
	v_fma_f64 v[72:73], v[106:107], s[20:21], v[78:79]
	v_fma_f64 v[78:79], v[106:107], s[52:53], v[78:79]
	v_add_f64 v[74:75], v[74:75], v[137:138]
	v_fma_f64 v[86:87], v[106:107], s[46:47], v[86:87]
	v_fma_f64 v[88:89], v[106:107], s[16:17], v[88:89]
	v_add_f64 v[70:71], v[84:85], v[70:71]
	v_add_f64 v[0:1], v[76:77], v[0:1]
	;; [unrolled: 1-line block ×9, first 2 shown]
	v_mad_u32_u24 v80, v128, s33, 0
	ds_write2_b64 v80, v[76:77], v[0:1] offset1:1
	ds_write2_b64 v80, v[68:69], v[82:83] offset0:2 offset1:3
	ds_write2_b64 v80, v[78:79], v[139:140] offset0:4 offset1:5
	;; [unrolled: 1-line block ×7, first 2 shown]
	ds_write_b64 v80, v[110:111] offset:128
.LBB0_13:
	s_or_b64 exec, exec, s[42:43]
	v_add_f64 v[120:121], v[60:61], -v[12:13]
	v_add_f64 v[116:117], v[62:63], v[14:15]
	v_add_f64 v[114:115], v[56:57], -v[16:17]
	v_add_f64 v[104:105], v[58:59], v[18:19]
	;; [unrolled: 2-line block ×4, first 2 shown]
	v_mul_f64 v[118:119], v[120:121], s[16:17]
	v_add_f64 v[52:53], v[48:49], -v[20:21]
	v_mul_f64 v[122:123], v[114:115], s[20:21]
	v_add_f64 v[48:49], v[50:51], v[22:23]
	v_mul_f64 v[106:107], v[102:103], s[24:25]
	v_add_f64 v[32:33], v[44:45], -v[32:33]
	v_mul_f64 v[100:101], v[60:61], s[28:29]
	v_add_f64 v[20:21], v[46:47], v[34:35]
	v_fma_f64 v[0:1], v[116:117], s[2:3], v[118:119]
	v_mul_f64 v[44:45], v[52:53], s[34:35]
	v_fma_f64 v[4:5], v[104:105], s[4:5], v[122:123]
	v_add_f64 v[12:13], v[40:41], -v[24:25]
	v_fma_f64 v[8:9], v[64:65], s[6:7], v[106:107]
	v_mul_f64 v[40:41], v[32:33], s[36:37]
	v_lshl_add_u32 v126, v128, 3, 0
	v_add_u32_e32 v125, 0x1c00, v126
	v_add_f64 v[0:1], v[0:1], v[2:3]
	v_fma_f64 v[16:17], v[48:49], s[18:19], v[44:45]
	s_waitcnt lgkmcnt(0)
	s_barrier
	v_fma_f64 v[24:25], v[20:21], s[22:23], v[40:41]
	ds_read2_b64 v[76:79], v126 offset1:119
	v_add_u32_e32 v133, 0x400, v126
	v_add_f64 v[0:1], v[4:5], v[0:1]
	v_fma_f64 v[4:5], v[56:57], s[10:11], v[100:101]
	v_add_u32_e32 v134, 0x2400, v126
	v_add_u32_e32 v135, 0xc00, v126
	;; [unrolled: 1-line block ×5, first 2 shown]
	v_add_f64 v[0:1], v[8:9], v[0:1]
	v_add_f64 v[8:9], v[26:27], v[42:43]
	;; [unrolled: 1-line block ×3, first 2 shown]
	v_add_f64 v[4:5], v[36:37], -v[28:29]
	v_mul_f64 v[28:29], v[12:13], s[38:39]
	v_add_f64 v[36:37], v[16:17], v[0:1]
	v_add_f64 v[0:1], v[30:31], v[38:39]
	v_mul_f64 v[16:17], v[4:5], s[40:41]
	v_fma_f64 v[68:69], v[8:9], s[26:27], v[28:29]
	v_add_f64 v[24:25], v[24:25], v[36:37]
	v_fma_f64 v[36:37], v[0:1], s[30:31], v[16:17]
	v_add_f64 v[24:25], v[68:69], v[24:25]
	ds_read2_b64 v[96:99], v125 offset0:56 offset1:175
	ds_read2_b64 v[80:83], v133 offset0:110 offset1:229
	;; [unrolled: 1-line block ×7, first 2 shown]
	s_waitcnt lgkmcnt(0)
	s_barrier
	v_add_f64 v[112:113], v[36:37], v[24:25]
	s_and_saveexec_b64 s[16:17], s[0:1]
	s_cbranch_execz .LBB0_15
; %bb.14:
	v_add_f64 v[24:25], v[62:63], v[2:3]
	v_mul_f64 v[140:141], v[48:49], s[18:19]
	s_mov_b32 s18, 0x923c349f
	s_mov_b32 s19, 0xbfeec746
	v_mul_f64 v[131:132], v[64:65], s[6:7]
	s_mov_b32 s6, 0xc61f0d01
	s_mov_b32 s20, 0x6c9a05f6
	;; [unrolled: 1-line block ×3, first 2 shown]
	v_add_f64 v[58:59], v[58:59], v[24:25]
	v_mul_f64 v[24:25], v[0:1], s[30:31]
	s_mov_b32 s30, 0x2a9d6da3
	s_mov_b32 s31, 0xbfe58eea
	;; [unrolled: 1-line block ×6, first 2 shown]
	v_add_f64 v[58:59], v[66:67], v[58:59]
	s_mov_b32 s50, s24
	v_mul_f64 v[62:63], v[116:117], s[2:3]
	v_mul_f64 v[66:67], v[120:121], s[20:21]
	;; [unrolled: 1-line block ×5, first 2 shown]
	s_mov_b32 s38, 0x7c9e640b
	v_add_f64 v[54:55], v[54:55], v[58:59]
	s_mov_b32 s26, 0xeb564b22
	s_mov_b32 s10, 0x6ed5f1bb
	s_mov_b32 s22, 0x910ea3b9
	s_mov_b32 s36, 0xacd6c6b4
	s_mov_b32 s39, 0xbfeca52d
	s_mov_b32 s27, 0xbfefdd0d
	s_mov_b32 s11, 0xbfe348c8
	v_add_f64 v[50:51], v[50:51], v[54:55]
	s_mov_b32 s23, 0xbfeb34fa
	s_mov_b32 s37, 0xbfc7851a
	;; [unrolled: 1-line block ×4, first 2 shown]
	v_mul_f64 v[129:130], v[104:105], s[4:5]
	v_mul_f64 v[54:55], v[120:121], s[38:39]
	;; [unrolled: 1-line block ×3, first 2 shown]
	v_add_f64 v[46:47], v[46:47], v[50:51]
	v_mul_f64 v[50:51], v[120:121], s[30:31]
	v_mul_f64 v[144:145], v[120:121], s[24:25]
	;; [unrolled: 1-line block ×4, first 2 shown]
	v_add_f64 v[62:63], v[62:63], -v[118:119]
	v_fma_f64 v[156:157], v[116:117], s[10:11], -v[66:67]
	v_fma_f64 v[66:67], v[116:117], s[10:11], v[66:67]
	v_add_f64 v[42:43], v[42:43], v[46:47]
	v_mul_f64 v[46:47], v[120:121], s[18:19]
	v_mul_f64 v[120:121], v[120:121], s[36:37]
	v_fma_f64 v[118:119], v[116:117], s[4:5], -v[50:51]
	v_fma_f64 v[50:51], v[116:117], s[4:5], v[50:51]
	s_mov_b32 s0, 0x2b2883cd
	s_mov_b32 s2, 0x3259b75e
	;; [unrolled: 1-line block ×3, first 2 shown]
	v_add_f64 v[38:39], v[38:39], v[42:43]
	v_mul_f64 v[42:43], v[114:115], s[50:51]
	s_mov_b32 s40, 0x5d8e7cdc
	s_mov_b32 s1, 0x3fdc86fa
	;; [unrolled: 1-line block ×6, first 2 shown]
	v_add_f64 v[30:31], v[30:31], v[38:39]
	s_mov_b32 s41, 0x3fd71e95
	v_mul_f64 v[148:149], v[114:115], s[20:21]
	v_mul_f64 v[150:151], v[114:115], s[36:37]
	v_mul_f64 v[154:155], v[114:115], s[28:29]
	v_add_f64 v[38:39], v[129:130], -v[122:123]
	v_fma_f64 v[122:123], v[116:117], s[0:1], -v[54:55]
	v_fma_f64 v[54:55], v[116:117], s[0:1], v[54:55]
	v_add_f64 v[26:27], v[26:27], v[30:31]
	v_fma_f64 v[30:31], v[116:117], s[6:7], -v[46:47]
	v_fma_f64 v[46:47], v[116:117], s[6:7], v[46:47]
	v_fma_f64 v[129:130], v[116:117], s[2:3], -v[58:59]
	v_fma_f64 v[58:59], v[116:117], s[2:3], v[58:59]
	;; [unrolled: 2-line block ×3, first 2 shown]
	v_fma_f64 v[160:161], v[116:117], s[34:35], -v[120:121]
	v_add_f64 v[26:27], v[34:35], v[26:27]
	v_add_f64 v[30:31], v[30:31], v[2:3]
	;; [unrolled: 1-line block ×3, first 2 shown]
	v_fma_f64 v[34:35], v[116:117], s[34:35], v[120:121]
	v_fma_f64 v[116:117], v[104:105], s[2:3], -v[146:147]
	v_fma_f64 v[120:121], v[104:105], s[2:3], v[146:147]
	v_fma_f64 v[164:165], v[104:105], s[6:7], -v[152:153]
	v_fma_f64 v[152:153], v[104:105], s[6:7], v[152:153]
	v_add_f64 v[22:23], v[22:23], v[26:27]
	v_fma_f64 v[26:27], v[104:105], s[22:23], -v[42:43]
	v_fma_f64 v[42:43], v[104:105], s[22:23], v[42:43]
	v_add_f64 v[62:63], v[62:63], v[2:3]
	v_add_f64 v[118:119], v[118:119], v[2:3]
	;; [unrolled: 1-line block ×3, first 2 shown]
	s_mov_b32 s42, 0x370991
	s_mov_b32 s43, 0x3fedd6d0
	v_add_f64 v[10:11], v[10:11], v[22:23]
	v_add_f64 v[22:23], v[50:51], v[2:3]
	;; [unrolled: 1-line block ×3, first 2 shown]
	v_mul_f64 v[30:31], v[114:115], s[40:41]
	s_mov_b32 s45, 0x3fc7851a
	s_mov_b32 s44, s36
	v_fma_f64 v[146:147], v[104:105], s[10:11], -v[148:149]
	v_fma_f64 v[148:149], v[104:105], s[10:11], v[148:149]
	v_add_f64 v[6:7], v[6:7], v[10:11]
	v_fma_f64 v[162:163], v[104:105], s[34:35], -v[150:151]
	v_fma_f64 v[150:151], v[104:105], s[34:35], v[150:151]
	v_fma_f64 v[166:167], v[104:105], s[0:1], -v[154:155]
	v_add_f64 v[50:51], v[122:123], v[2:3]
	v_add_f64 v[54:55], v[54:55], v[2:3]
	;; [unrolled: 1-line block ×14, first 2 shown]
	v_mul_f64 v[46:47], v[102:103], s[20:21]
	v_add_f64 v[22:23], v[120:121], v[22:23]
	v_add_f64 v[42:43], v[152:153], v[66:67]
	v_fma_f64 v[66:67], v[104:105], s[0:1], v[154:155]
	v_fma_f64 v[114:115], v[104:105], s[42:43], -v[30:31]
	v_fma_f64 v[30:31], v[104:105], s[42:43], v[30:31]
	v_add_f64 v[104:105], v[131:132], -v[106:107]
	v_mul_f64 v[116:117], v[102:103], s[44:45]
	v_fma_f64 v[106:107], v[64:65], s[10:11], -v[46:47]
	v_fma_f64 v[46:47], v[64:65], s[10:11], v[46:47]
	v_add_f64 v[38:39], v[146:147], v[50:51]
	v_add_f64 v[50:51], v[148:149], v[54:55]
	v_mul_f64 v[118:119], v[102:103], s[46:47]
	v_add_f64 v[2:3], v[30:31], v[2:3]
	v_add_f64 v[30:31], v[104:105], v[34:35]
	v_fma_f64 v[34:35], v[64:65], s[34:35], -v[116:117]
	s_mov_b32 s45, 0x3fe58eea
	v_add_f64 v[22:23], v[46:47], v[22:23]
	v_fma_f64 v[46:47], v[64:65], s[34:35], v[116:117]
	s_mov_b32 s44, s30
	s_mov_b32 s49, 0xbfd71e95
	;; [unrolled: 1-line block ×3, first 2 shown]
	v_add_f64 v[54:55], v[162:163], v[122:123]
	v_add_f64 v[58:59], v[150:151], v[58:59]
	;; [unrolled: 1-line block ×3, first 2 shown]
	v_fma_f64 v[104:105], v[64:65], s[6:7], -v[118:119]
	v_mul_f64 v[106:107], v[102:103], s[44:45]
	v_mul_f64 v[116:117], v[102:103], s[48:49]
	v_add_f64 v[34:35], v[34:35], v[38:39]
	v_add_f64 v[38:39], v[46:47], v[50:51]
	v_fma_f64 v[46:47], v[64:65], s[6:7], v[118:119]
	v_mul_f64 v[50:51], v[102:103], s[26:27]
	v_add_f64 v[10:11], v[164:165], v[10:11]
	v_add_f64 v[62:63], v[166:167], v[129:130]
	;; [unrolled: 1-line block ×3, first 2 shown]
	v_fma_f64 v[118:119], v[64:65], s[4:5], -v[106:107]
	v_add_f64 v[54:55], v[104:105], v[54:55]
	v_fma_f64 v[104:105], v[64:65], s[4:5], v[106:107]
	v_fma_f64 v[106:107], v[64:65], s[42:43], -v[116:117]
	v_mul_f64 v[102:103], v[102:103], s[24:25]
	v_add_f64 v[46:47], v[46:47], v[58:59]
	v_fma_f64 v[58:59], v[64:65], s[2:3], -v[50:51]
	v_fma_f64 v[50:51], v[64:65], s[2:3], v[50:51]
	v_add_f64 v[114:115], v[114:115], v[156:157]
	v_fma_f64 v[116:117], v[64:65], s[42:43], v[116:117]
	v_add_f64 v[14:15], v[104:105], v[14:15]
	v_add_f64 v[10:11], v[106:107], v[10:11]
	v_fma_f64 v[104:105], v[64:65], s[22:23], -v[102:103]
	v_mul_f64 v[106:107], v[60:61], s[36:37]
	v_add_f64 v[58:59], v[58:59], v[62:63]
	v_mul_f64 v[62:63], v[60:61], s[46:47]
	v_add_f64 v[50:51], v[50:51], v[66:67]
	v_fma_f64 v[64:65], v[64:65], s[22:23], v[102:103]
	v_mul_f64 v[66:67], v[60:61], s[40:41]
	v_add_f64 v[100:101], v[138:139], -v[100:101]
	v_add_f64 v[102:103], v[104:105], v[114:115]
	v_fma_f64 v[104:105], v[56:57], s[34:35], -v[106:107]
	s_mov_b32 s53, 0x3fe9895b
	v_fma_f64 v[114:115], v[56:57], s[6:7], -v[62:63]
	v_fma_f64 v[62:63], v[56:57], s[6:7], v[62:63]
	v_add_f64 v[2:3], v[64:65], v[2:3]
	v_fma_f64 v[64:65], v[56:57], s[42:43], -v[66:67]
	v_add_f64 v[30:31], v[100:101], v[30:31]
	v_mul_f64 v[100:101], v[60:61], s[38:39]
	s_mov_b32 s52, s20
	v_add_f64 v[26:27], v[118:119], v[26:27]
	v_fma_f64 v[106:107], v[56:57], s[34:35], v[106:107]
	v_add_f64 v[18:19], v[104:105], v[18:19]
	v_add_f64 v[38:39], v[62:63], v[38:39]
	v_mul_f64 v[62:63], v[60:61], s[24:25]
	v_add_f64 v[54:55], v[64:65], v[54:55]
	v_fma_f64 v[64:65], v[56:57], s[42:43], v[66:67]
	v_fma_f64 v[66:67], v[56:57], s[0:1], -v[100:101]
	v_mul_f64 v[104:105], v[60:61], s[52:53]
	v_add_f64 v[42:43], v[116:117], v[42:43]
	v_add_f64 v[22:23], v[106:107], v[22:23]
	v_fma_f64 v[100:101], v[56:57], s[0:1], v[100:101]
	v_fma_f64 v[106:107], v[56:57], s[22:23], -v[62:63]
	v_fma_f64 v[62:63], v[56:57], s[22:23], v[62:63]
	v_add_f64 v[46:47], v[64:65], v[46:47]
	v_mul_f64 v[60:61], v[60:61], s[44:45]
	v_add_f64 v[26:27], v[66:67], v[26:27]
	v_mul_f64 v[64:65], v[52:53], s[50:51]
	v_fma_f64 v[66:67], v[56:57], s[10:11], -v[104:105]
	v_add_f64 v[44:45], v[140:141], -v[44:45]
	v_add_f64 v[14:15], v[100:101], v[14:15]
	v_add_f64 v[42:43], v[62:63], v[42:43]
	v_fma_f64 v[62:63], v[56:57], s[10:11], v[104:105]
	v_fma_f64 v[100:101], v[56:57], s[4:5], -v[60:61]
	v_fma_f64 v[56:57], v[56:57], s[4:5], v[60:61]
	v_fma_f64 v[60:61], v[48:49], s[22:23], -v[64:65]
	v_add_f64 v[58:59], v[66:67], v[58:59]
	v_mul_f64 v[66:67], v[52:53], s[44:45]
	v_fma_f64 v[64:65], v[48:49], s[22:23], v[64:65]
	v_add_f64 v[30:31], v[44:45], v[30:31]
	v_mul_f64 v[44:45], v[52:53], s[38:39]
	s_mov_b32 s39, 0x3fefdd0d
	s_mov_b32 s38, s26
	v_add_f64 v[34:35], v[114:115], v[34:35]
	v_add_f64 v[50:51], v[62:63], v[50:51]
	;; [unrolled: 1-line block ×5, first 2 shown]
	v_fma_f64 v[56:57], v[48:49], s[4:5], -v[66:67]
	v_add_f64 v[22:23], v[64:65], v[22:23]
	v_fma_f64 v[60:61], v[48:49], s[4:5], v[66:67]
	v_mul_f64 v[64:65], v[52:53], s[36:37]
	v_mul_f64 v[66:67], v[52:53], s[38:39]
	v_fma_f64 v[100:101], v[48:49], s[0:1], -v[44:45]
	v_fma_f64 v[44:45], v[48:49], s[0:1], v[44:45]
	v_add_f64 v[40:41], v[142:143], -v[40:41]
	v_add_f64 v[34:35], v[56:57], v[34:35]
	v_add_f64 v[28:29], v[36:37], -v[28:29]
	v_add_f64 v[38:39], v[60:61], v[38:39]
	v_fma_f64 v[56:57], v[48:49], s[34:35], -v[64:65]
	v_mul_f64 v[60:61], v[52:53], s[48:49]
	v_fma_f64 v[64:65], v[48:49], s[34:35], v[64:65]
	v_mul_f64 v[52:53], v[52:53], s[20:21]
	v_add_f64 v[44:45], v[44:45], v[46:47]
	v_fma_f64 v[46:47], v[48:49], s[2:3], v[66:67]
	v_fma_f64 v[102:103], v[48:49], s[2:3], -v[66:67]
	v_mul_f64 v[66:67], v[32:33], s[46:47]
	v_add_f64 v[26:27], v[56:57], v[26:27]
	v_fma_f64 v[56:57], v[48:49], s[42:43], -v[60:61]
	v_add_f64 v[14:15], v[64:65], v[14:15]
	v_fma_f64 v[60:61], v[48:49], s[42:43], v[60:61]
	v_fma_f64 v[64:65], v[48:49], s[10:11], -v[52:53]
	v_add_f64 v[42:43], v[46:47], v[42:43]
	v_fma_f64 v[46:47], v[48:49], s[10:11], v[52:53]
	v_mul_f64 v[52:53], v[32:33], s[48:49]
	v_add_f64 v[30:31], v[40:41], v[30:31]
	v_add_f64 v[48:49], v[56:57], v[58:59]
	v_fma_f64 v[58:59], v[20:21], s[6:7], -v[66:67]
	v_add_f64 v[50:51], v[60:61], v[50:51]
	v_add_f64 v[56:57], v[64:65], v[62:63]
	v_fma_f64 v[60:61], v[20:21], s[6:7], v[66:67]
	v_add_f64 v[2:3], v[46:47], v[2:3]
	v_mul_f64 v[46:47], v[32:33], s[24:25]
	v_fma_f64 v[40:41], v[20:21], s[42:43], -v[52:53]
	v_fma_f64 v[52:53], v[20:21], s[42:43], v[52:53]
	v_mul_f64 v[62:63], v[32:33], s[38:39]
	v_add_f64 v[18:19], v[58:59], v[18:19]
	v_mul_f64 v[58:59], v[32:33], s[30:31]
	v_add_f64 v[22:23], v[60:61], v[22:23]
	v_add_f64 v[54:55], v[100:101], v[54:55]
	v_fma_f64 v[60:61], v[20:21], s[22:23], -v[46:47]
	v_fma_f64 v[46:47], v[20:21], s[22:23], v[46:47]
	v_add_f64 v[34:35], v[40:41], v[34:35]
	v_add_f64 v[38:39], v[52:53], v[38:39]
	v_fma_f64 v[40:41], v[20:21], s[2:3], -v[62:63]
	v_mul_f64 v[52:53], v[32:33], s[36:37]
	v_fma_f64 v[64:65], v[20:21], s[4:5], -v[58:59]
	v_mul_f64 v[32:33], v[32:33], s[28:29]
	v_fma_f64 v[62:63], v[20:21], s[2:3], v[62:63]
	v_add_f64 v[44:45], v[46:47], v[44:45]
	v_fma_f64 v[46:47], v[20:21], s[4:5], v[58:59]
	v_mul_f64 v[58:59], v[12:13], s[28:29]
	v_add_f64 v[26:27], v[40:41], v[26:27]
	v_fma_f64 v[40:41], v[20:21], s[34:35], -v[52:53]
	v_add_f64 v[54:55], v[60:61], v[54:55]
	v_fma_f64 v[52:53], v[20:21], s[34:35], v[52:53]
	v_fma_f64 v[60:61], v[20:21], s[0:1], -v[32:33]
	v_fma_f64 v[20:21], v[20:21], s[0:1], v[32:33]
	v_add_f64 v[42:43], v[46:47], v[42:43]
	v_fma_f64 v[36:37], v[8:9], s[0:1], -v[58:59]
	v_add_f64 v[28:29], v[28:29], v[30:31]
	v_add_f64 v[32:33], v[40:41], v[48:49]
	v_mul_f64 v[40:41], v[12:13], s[26:27]
	v_add_f64 v[46:47], v[52:53], v[50:51]
	v_fma_f64 v[50:51], v[8:9], s[0:1], v[58:59]
	v_add_f64 v[2:3], v[20:21], v[2:3]
	v_mul_f64 v[20:21], v[12:13], s[52:53]
	v_add_f64 v[18:19], v[36:37], v[18:19]
	v_mul_f64 v[36:37], v[12:13], s[48:49]
	v_add_f64 v[14:15], v[62:63], v[14:15]
	v_fma_f64 v[52:53], v[8:9], s[2:3], -v[40:41]
	v_fma_f64 v[30:31], v[8:9], s[2:3], v[40:41]
	v_mul_f64 v[40:41], v[12:13], s[36:37]
	v_add_f64 v[22:23], v[50:51], v[22:23]
	v_fma_f64 v[50:51], v[8:9], s[10:11], -v[20:21]
	v_fma_f64 v[20:21], v[8:9], s[10:11], v[20:21]
	v_add_f64 v[48:49], v[60:61], v[56:57]
	v_add_f64 v[10:11], v[106:107], v[10:11]
	;; [unrolled: 1-line block ×3, first 2 shown]
	v_mul_f64 v[52:53], v[12:13], s[44:45]
	v_add_f64 v[30:31], v[30:31], v[38:39]
	v_fma_f64 v[38:39], v[8:9], s[42:43], -v[36:37]
	v_fma_f64 v[36:37], v[8:9], s[42:43], v[36:37]
	v_fma_f64 v[56:57], v[8:9], s[34:35], -v[40:41]
	v_fma_f64 v[40:41], v[8:9], s[34:35], v[40:41]
	v_mul_f64 v[12:13], v[12:13], s[18:19]
	v_add_f64 v[20:21], v[20:21], v[44:45]
	v_fma_f64 v[44:45], v[8:9], s[4:5], -v[52:53]
	v_add_f64 v[10:11], v[102:103], v[10:11]
	v_add_f64 v[26:27], v[38:39], v[26:27]
	;; [unrolled: 1-line block ×3, first 2 shown]
	v_mul_f64 v[36:37], v[4:5], s[40:41]
	v_add_f64 v[38:39], v[40:41], v[42:43]
	v_fma_f64 v[40:41], v[8:9], s[4:5], v[52:53]
	v_fma_f64 v[42:43], v[8:9], s[6:7], -v[12:13]
	v_fma_f64 v[8:9], v[8:9], s[6:7], v[12:13]
	v_add_f64 v[12:13], v[24:25], -v[16:17]
	v_mul_f64 v[16:17], v[4:5], s[24:25]
	v_add_f64 v[32:33], v[44:45], v[32:33]
	v_fma_f64 v[24:25], v[0:1], s[42:43], -v[36:37]
	v_fma_f64 v[36:37], v[0:1], s[42:43], v[36:37]
	v_mul_f64 v[44:45], v[4:5], s[44:45]
	v_add_f64 v[10:11], v[64:65], v[10:11]
	v_add_f64 v[2:3], v[8:9], v[2:3]
	;; [unrolled: 1-line block ×3, first 2 shown]
	v_fma_f64 v[12:13], v[0:1], s[22:23], -v[16:17]
	v_fma_f64 v[16:17], v[0:1], s[22:23], v[16:17]
	v_add_f64 v[18:19], v[24:25], v[18:19]
	v_add_f64 v[22:23], v[36:37], v[22:23]
	v_fma_f64 v[28:29], v[0:1], s[4:5], v[44:45]
	v_mul_f64 v[36:37], v[4:5], s[20:21]
	v_fma_f64 v[24:25], v[0:1], s[4:5], -v[44:45]
	v_mul_f64 v[44:45], v[4:5], s[28:29]
	v_add_f64 v[12:13], v[12:13], v[34:35]
	v_mul_f64 v[34:35], v[4:5], s[18:19]
	v_mul_f64 v[4:5], v[4:5], s[38:39]
	v_add_f64 v[50:51], v[50:51], v[54:55]
	v_add_f64 v[20:21], v[28:29], v[20:21]
	v_fma_f64 v[28:29], v[0:1], s[10:11], -v[36:37]
	v_add_f64 v[10:11], v[56:57], v[10:11]
	v_add_f64 v[40:41], v[40:41], v[46:47]
	;; [unrolled: 1-line block ×3, first 2 shown]
	v_fma_f64 v[30:31], v[0:1], s[0:1], -v[44:45]
	v_fma_f64 v[46:47], v[0:1], s[6:7], -v[34:35]
	v_add_f64 v[42:43], v[42:43], v[48:49]
	v_fma_f64 v[48:49], v[0:1], s[2:3], -v[4:5]
	v_fma_f64 v[4:5], v[0:1], s[2:3], v[4:5]
	v_fma_f64 v[44:45], v[0:1], s[0:1], v[44:45]
	;; [unrolled: 1-line block ×4, first 2 shown]
	v_add_f64 v[24:25], v[24:25], v[50:51]
	v_add_f64 v[26:27], v[28:29], v[26:27]
	;; [unrolled: 1-line block ×9, first 2 shown]
	v_lshl_add_u32 v14, v128, 7, v126
	ds_write2_b64 v14, v[6:7], v[8:9] offset1:1
	ds_write2_b64 v14, v[18:19], v[12:13] offset0:2 offset1:3
	ds_write2_b64 v14, v[24:25], v[26:27] offset0:4 offset1:5
	ds_write2_b64 v14, v[10:11], v[30:31] offset0:6 offset1:7
	ds_write2_b64 v14, v[32:33], v[2:3] offset0:8 offset1:9
	ds_write2_b64 v14, v[4:5], v[28:29] offset0:10 offset1:11
	ds_write2_b64 v14, v[0:1], v[20:21] offset0:12 offset1:13
	ds_write2_b64 v14, v[16:17], v[22:23] offset0:14 offset1:15
	ds_write_b64 v14, v[112:113] offset:128
.LBB0_15:
	s_or_b64 exec, exec, s[16:17]
	s_movk_i32 s0, 0xf1
	v_add_u32_e32 v131, 0x77, v128
	v_mul_lo_u16_sdwa v120, v128, s0 dst_sel:DWORD dst_unused:UNUSED_PAD src0_sel:BYTE_0 src1_sel:DWORD
	v_lshrrev_b16_e32 v121, 12, v120
	v_mul_lo_u16_sdwa v138, v131, s0 dst_sel:DWORD dst_unused:UNUSED_PAD src0_sel:BYTE_0 src1_sel:DWORD
	v_add_u32_e32 v129, 0xee, v128
	v_mul_lo_u16_e32 v0, 17, v121
	v_lshrrev_b16_e32 v139, 12, v138
	s_mov_b32 s0, 0xf0f1
	v_add_u32_e32 v127, 0x165, v128
	v_sub_u16_e32 v122, v128, v0
	v_mov_b32_e32 v123, 4
	v_mul_lo_u16_e32 v0, 17, v139
	v_mul_u32_u24_sdwa v141, v129, s0 dst_sel:DWORD dst_unused:UNUSED_PAD src0_sel:WORD_0 src1_sel:DWORD
	v_lshlrev_b32_sdwa v8, v123, v122 dst_sel:DWORD dst_unused:UNUSED_PAD src0_sel:DWORD src1_sel:BYTE_0
	v_sub_u16_e32 v140, v131, v0
	v_lshrrev_b32_e32 v142, 20, v141
	v_mul_u32_u24_sdwa v144, v127, s0 dst_sel:DWORD dst_unused:UNUSED_PAD src0_sel:WORD_0 src1_sel:DWORD
	v_add_u32_e32 v132, 0x1dc, v128
	s_waitcnt lgkmcnt(0)
	s_barrier
	v_lshlrev_b32_sdwa v9, v123, v140 dst_sel:DWORD dst_unused:UNUSED_PAD src0_sel:DWORD src1_sel:BYTE_0
	global_load_dwordx4 v[0:3], v8, s[8:9]
	global_load_dwordx4 v[4:7], v9, s[8:9]
	v_mul_lo_u16_e32 v8, 17, v142
	v_lshrrev_b32_e32 v145, 20, v144
	v_add_u32_e32 v130, 0x253, v128
	v_sub_u16_e32 v143, v129, v8
	v_mul_lo_u16_e32 v8, 17, v145
	v_mul_u32_u24_sdwa v147, v132, s0 dst_sel:DWORD dst_unused:UNUSED_PAD src0_sel:WORD_0 src1_sel:DWORD
	v_lshlrev_b32_e32 v16, 4, v143
	v_sub_u16_e32 v146, v127, v8
	v_lshrrev_b32_e32 v148, 20, v147
	v_mul_u32_u24_sdwa v150, v130, s0 dst_sel:DWORD dst_unused:UNUSED_PAD src0_sel:WORD_0 src1_sel:DWORD
	v_lshlrev_b32_e32 v17, 4, v146
	global_load_dwordx4 v[8:11], v16, s[8:9]
	global_load_dwordx4 v[12:15], v17, s[8:9]
	v_mul_lo_u16_e32 v16, 17, v148
	v_lshrrev_b32_e32 v151, 20, v150
	v_add_u32_e32 v118, 0x2ca, v128
	v_add_u32_e32 v119, 0x341, v128
	v_sub_u16_e32 v149, v132, v16
	v_mul_lo_u16_e32 v16, 17, v151
	v_sub_u16_e32 v152, v130, v16
	v_mul_u32_u24_sdwa v153, v118, s0 dst_sel:DWORD dst_unused:UNUSED_PAD src0_sel:WORD_0 src1_sel:DWORD
	v_mul_u32_u24_sdwa v156, v119, s0 dst_sel:DWORD dst_unused:UNUSED_PAD src0_sel:WORD_0 src1_sel:DWORD
	v_lshlrev_b32_e32 v24, 4, v149
	v_lshlrev_b32_e32 v25, 4, v152
	v_lshrrev_b32_e32 v154, 20, v153
	v_lshrrev_b32_e32 v157, 20, v156
	global_load_dwordx4 v[16:19], v24, s[8:9]
	global_load_dwordx4 v[20:23], v25, s[8:9]
	v_mul_lo_u16_e32 v24, 17, v154
	v_mul_lo_u16_e32 v25, 17, v157
	v_sub_u16_e32 v155, v118, v24
	v_sub_u16_e32 v158, v119, v25
	v_lshlrev_b32_e32 v24, 4, v155
	v_lshlrev_b32_e32 v28, 4, v158
	global_load_dwordx4 v[24:27], v24, s[8:9]
	v_lshrrev_b16_e32 v120, 13, v120
	global_load_dwordx4 v[28:31], v28, s[8:9]
	ds_read2_b64 v[32:35], v126 offset1:119
	ds_read2_b64 v[36:39], v125 offset0:56 offset1:175
	ds_read2_b64 v[40:43], v133 offset0:110 offset1:229
	;; [unrolled: 1-line block ×7, first 2 shown]
	s_waitcnt vmcnt(0) lgkmcnt(0)
	s_barrier
	v_lshrrev_b16_e32 v138, 13, v138
	v_cmp_gt_u32_e64 s[0:1], 34, v128
	v_mul_f64 v[64:65], v[36:37], v[2:3]
	v_mul_f64 v[2:3], v[96:97], v[2:3]
	;; [unrolled: 1-line block ×4, first 2 shown]
	v_fma_f64 v[64:65], v[96:97], v[0:1], v[64:65]
	v_fma_f64 v[0:1], v[36:37], v[0:1], -v[2:3]
	v_fma_f64 v[2:3], v[98:99], v[4:5], v[66:67]
	v_fma_f64 v[4:5], v[38:39], v[4:5], -v[6:7]
	v_mul_f64 v[100:101], v[44:45], v[10:11]
	v_mul_f64 v[10:11], v[92:93], v[10:11]
	;; [unrolled: 1-line block ×4, first 2 shown]
	v_mul_u32_u24_e32 v38, 0x110, v121
	v_mov_b32_e32 v121, 3
	v_lshlrev_b32_sdwa v39, v121, v122 dst_sel:DWORD dst_unused:UNUSED_PAD src0_sel:DWORD src1_sel:BYTE_0
	v_fma_f64 v[6:7], v[92:93], v[8:9], v[100:101]
	v_fma_f64 v[8:9], v[44:45], v[8:9], -v[10:11]
	v_fma_f64 v[10:11], v[94:95], v[12:13], v[102:103]
	v_fma_f64 v[12:13], v[46:47], v[12:13], -v[14:15]
	v_add_f64 v[44:45], v[32:33], -v[0:1]
	v_add_f64 v[0:1], v[78:79], -v[2:3]
	v_mul_f64 v[104:105], v[52:53], v[18:19]
	v_mul_f64 v[18:19], v[84:85], v[18:19]
	;; [unrolled: 1-line block ×4, first 2 shown]
	v_add_f64 v[46:47], v[34:35], -v[4:5]
	v_add_f64 v[2:3], v[80:81], -v[6:7]
	;; [unrolled: 1-line block ×3, first 2 shown]
	v_mul_f64 v[114:115], v[60:61], v[26:27]
	v_mul_f64 v[26:27], v[88:89], v[26:27]
	;; [unrolled: 1-line block ×4, first 2 shown]
	v_fma_f64 v[14:15], v[84:85], v[16:17], v[104:105]
	v_fma_f64 v[16:17], v[52:53], v[16:17], -v[18:19]
	v_fma_f64 v[18:19], v[86:87], v[20:21], v[106:107]
	v_fma_f64 v[20:21], v[54:55], v[20:21], -v[22:23]
	v_fma_f64 v[22:23], v[88:89], v[24:25], v[114:115]
	v_fma_f64 v[24:25], v[60:61], v[24:25], -v[26:27]
	v_fma_f64 v[26:27], v[90:91], v[28:29], v[116:117]
	v_fma_f64 v[28:29], v[62:63], v[28:29], -v[30:31]
	v_add_f64 v[30:31], v[76:77], -v[64:65]
	v_add_f64 v[14:15], v[68:69], -v[14:15]
	;; [unrolled: 1-line block ×3, first 2 shown]
	v_fma_f64 v[8:9], v[78:79], 2.0, -v[0:1]
	v_add_f64 v[54:55], v[42:43], -v[12:13]
	v_fma_f64 v[10:11], v[80:81], 2.0, -v[2:3]
	v_fma_f64 v[12:13], v[82:83], 2.0, -v[4:5]
	v_add_f64 v[20:21], v[50:51], -v[20:21]
	v_fma_f64 v[6:7], v[76:77], 2.0, -v[30:31]
	v_add_f64 v[76:77], v[48:49], -v[16:17]
	v_add_f64 v[16:17], v[70:71], -v[18:19]
	v_add_f64 v[18:19], v[72:73], -v[22:23]
	v_add_f64 v[22:23], v[56:57], -v[24:25]
	v_add_f64 v[24:25], v[74:75], -v[26:27]
	v_add_f64 v[26:27], v[58:59], -v[28:29]
	v_fma_f64 v[28:29], v[68:69], 2.0, -v[14:15]
	v_add3_u32 v68, 0, v38, v39
	ds_write2_b64 v68, v[6:7], v[30:31] offset1:17
	v_mul_u32_u24_e32 v6, 0x110, v139
	v_lshlrev_b32_sdwa v7, v121, v140 dst_sel:DWORD dst_unused:UNUSED_PAD src0_sel:DWORD src1_sel:BYTE_0
	v_fma_f64 v[60:61], v[32:33], 2.0, -v[44:45]
	v_fma_f64 v[62:63], v[34:35], 2.0, -v[46:47]
	;; [unrolled: 1-line block ×5, first 2 shown]
	v_add3_u32 v30, 0, v6, v7
	ds_write2_b64 v30, v[8:9], v[0:1] offset1:17
	v_mul_u32_u24_e32 v0, 0x110, v142
	v_lshlrev_b32_e32 v1, 3, v143
	v_fma_f64 v[64:65], v[40:41], 2.0, -v[52:53]
	v_add3_u32 v31, 0, v0, v1
	v_mul_u32_u24_e32 v0, 0x110, v145
	v_lshlrev_b32_e32 v1, 3, v146
	v_fma_f64 v[66:67], v[42:43], 2.0, -v[54:55]
	v_add3_u32 v69, 0, v0, v1
	v_mul_u32_u24_e32 v0, 0x110, v148
	v_lshlrev_b32_e32 v1, 3, v149
	v_fma_f64 v[48:49], v[48:49], 2.0, -v[76:77]
	v_add3_u32 v70, 0, v0, v1
	v_mul_u32_u24_e32 v0, 0x110, v151
	v_lshlrev_b32_e32 v1, 3, v152
	v_fma_f64 v[50:51], v[50:51], 2.0, -v[20:21]
	ds_write2_b64 v31, v[10:11], v[2:3] offset1:17
	ds_write2_b64 v69, v[12:13], v[4:5] offset1:17
	;; [unrolled: 1-line block ×3, first 2 shown]
	v_add3_u32 v28, 0, v0, v1
	v_mul_u32_u24_e32 v0, 0x110, v154
	v_lshlrev_b32_e32 v1, 3, v155
	v_fma_f64 v[56:57], v[56:57], 2.0, -v[22:23]
	v_add3_u32 v29, 0, v0, v1
	v_mul_u32_u24_e32 v0, 0x110, v157
	v_lshlrev_b32_e32 v1, 3, v158
	v_fma_f64 v[58:59], v[58:59], 2.0, -v[26:27]
	v_add3_u32 v71, 0, v0, v1
	ds_write2_b64 v28, v[32:33], v[16:17] offset1:17
	ds_write2_b64 v29, v[34:35], v[18:19] offset1:17
	;; [unrolled: 1-line block ×3, first 2 shown]
	s_waitcnt lgkmcnt(0)
	s_barrier
	ds_read2_b64 v[4:7], v126 offset1:119
	ds_read2_b64 v[40:43], v125 offset0:56 offset1:175
	ds_read2_b64 v[8:11], v133 offset0:110 offset1:229
	;; [unrolled: 1-line block ×7, first 2 shown]
	s_waitcnt lgkmcnt(0)
	s_barrier
	ds_write2_b64 v68, v[60:61], v[44:45] offset1:17
	ds_write2_b64 v30, v[62:63], v[46:47] offset1:17
	;; [unrolled: 1-line block ×8, first 2 shown]
	v_mul_lo_u16_e32 v20, 34, v120
	v_mul_lo_u16_e32 v21, 34, v138
	v_sub_u16_e32 v122, v128, v20
	v_sub_u16_e32 v139, v131, v21
	v_lshlrev_b32_sdwa v20, v123, v122 dst_sel:DWORD dst_unused:UNUSED_PAD src0_sel:DWORD src1_sel:BYTE_0
	v_lshlrev_b32_sdwa v21, v123, v139 dst_sel:DWORD dst_unused:UNUSED_PAD src0_sel:DWORD src1_sel:BYTE_0
	v_lshrrev_b32_e32 v123, 21, v141
	s_waitcnt lgkmcnt(0)
	s_barrier
	global_load_dwordx4 v[44:47], v20, s[8:9] offset:272
	global_load_dwordx4 v[48:51], v21, s[8:9] offset:272
	v_mul_lo_u16_e32 v20, 34, v123
	v_lshrrev_b32_e32 v141, 21, v144
	v_sub_u16_e32 v140, v129, v20
	v_mul_lo_u16_e32 v21, 34, v141
	v_lshlrev_b32_e32 v20, 4, v140
	v_sub_u16_e32 v142, v127, v21
	v_lshrrev_b32_e32 v143, 21, v147
	v_lshlrev_b32_e32 v21, 4, v142
	global_load_dwordx4 v[52:55], v20, s[8:9] offset:272
	global_load_dwordx4 v[56:59], v21, s[8:9] offset:272
	v_mul_lo_u16_e32 v20, 34, v143
	v_lshrrev_b32_e32 v145, 21, v150
	v_sub_u16_e32 v144, v132, v20
	v_mul_lo_u16_e32 v21, 34, v145
	v_lshlrev_b32_e32 v20, 4, v144
	v_sub_u16_e32 v146, v130, v21
	v_lshrrev_b32_e32 v147, 21, v153
	v_lshlrev_b32_e32 v21, 4, v146
	global_load_dwordx4 v[60:63], v20, s[8:9] offset:272
	global_load_dwordx4 v[64:67], v21, s[8:9] offset:272
	v_mul_lo_u16_e32 v20, 34, v147
	v_lshrrev_b32_e32 v149, 21, v156
	v_sub_u16_e32 v148, v118, v20
	v_mul_lo_u16_e32 v21, 34, v149
	v_lshlrev_b32_e32 v20, 4, v148
	v_sub_u16_e32 v150, v119, v21
	v_lshlrev_b32_e32 v21, 4, v150
	global_load_dwordx4 v[84:87], v20, s[8:9] offset:272
	global_load_dwordx4 v[88:91], v21, s[8:9] offset:272
	ds_read2_b64 v[68:71], v126 offset1:119
	ds_read2_b64 v[92:95], v125 offset0:56 offset1:175
	ds_read2_b64 v[72:75], v133 offset0:110 offset1:229
	;; [unrolled: 1-line block ×7, first 2 shown]
	s_waitcnt vmcnt(0) lgkmcnt(0)
	s_barrier
	v_mul_f64 v[20:21], v[92:93], v[46:47]
	v_mul_f64 v[22:23], v[94:95], v[50:51]
	v_fma_f64 v[20:21], v[40:41], v[44:45], v[20:21]
	v_mul_f64 v[24:25], v[96:97], v[54:55]
	v_mul_f64 v[26:27], v[98:99], v[58:59]
	v_fma_f64 v[22:23], v[42:43], v[48:49], v[22:23]
	v_add_f64 v[20:21], v[4:5], -v[20:21]
	v_fma_f64 v[24:25], v[36:37], v[52:53], v[24:25]
	v_mul_f64 v[28:29], v[100:101], v[62:63]
	v_mul_f64 v[30:31], v[102:103], v[66:67]
	v_fma_f64 v[26:27], v[38:39], v[56:57], v[26:27]
	v_add_f64 v[22:23], v[6:7], -v[22:23]
	v_fma_f64 v[4:5], v[4:5], 2.0, -v[20:21]
	v_add_f64 v[24:25], v[8:9], -v[24:25]
	v_mul_f64 v[114:115], v[104:105], v[86:87]
	v_mul_f64 v[116:117], v[106:107], v[90:91]
	v_fma_f64 v[28:29], v[32:33], v[60:61], v[28:29]
	v_fma_f64 v[30:31], v[34:35], v[64:65], v[30:31]
	v_add_f64 v[26:27], v[10:11], -v[26:27]
	v_fma_f64 v[6:7], v[6:7], 2.0, -v[22:23]
	v_fma_f64 v[8:9], v[8:9], 2.0, -v[24:25]
	v_fma_f64 v[114:115], v[0:1], v[84:85], v[114:115]
	v_fma_f64 v[116:117], v[2:3], v[88:89], v[116:117]
	v_add_f64 v[28:29], v[12:13], -v[28:29]
	v_add_f64 v[30:31], v[14:15], -v[30:31]
	v_fma_f64 v[10:11], v[10:11], 2.0, -v[26:27]
	v_add_f64 v[118:119], v[16:17], -v[114:115]
	v_add_f64 v[116:117], v[18:19], -v[116:117]
	v_fma_f64 v[12:13], v[12:13], 2.0, -v[28:29]
	v_fma_f64 v[14:15], v[14:15], 2.0, -v[30:31]
	;; [unrolled: 1-line block ×4, first 2 shown]
	v_mul_u32_u24_e32 v18, 0x220, v120
	v_lshlrev_b32_sdwa v19, v121, v122 dst_sel:DWORD dst_unused:UNUSED_PAD src0_sel:DWORD src1_sel:BYTE_0
	v_add3_u32 v133, 0, v18, v19
	ds_write2_b64 v133, v[4:5], v[20:21] offset1:34
	v_mul_u32_u24_e32 v4, 0x220, v138
	v_lshlrev_b32_sdwa v5, v121, v139 dst_sel:DWORD dst_unused:UNUSED_PAD src0_sel:DWORD src1_sel:BYTE_0
	v_add3_u32 v134, 0, v4, v5
	v_mul_u32_u24_e32 v4, 0x220, v123
	v_lshlrev_b32_e32 v5, 3, v140
	v_add3_u32 v135, 0, v4, v5
	v_mul_u32_u24_e32 v4, 0x220, v141
	v_lshlrev_b32_e32 v5, 3, v142
	;; [unrolled: 3-line block ×6, first 2 shown]
	v_add3_u32 v140, 0, v4, v5
	v_add_u32_e32 v141, 0x800, v126
	v_add_u32_e32 v142, 0x1000, v126
	;; [unrolled: 1-line block ×5, first 2 shown]
	ds_write2_b64 v134, v[6:7], v[22:23] offset1:34
	ds_write2_b64 v135, v[8:9], v[24:25] offset1:34
	;; [unrolled: 1-line block ×7, first 2 shown]
	s_waitcnt lgkmcnt(0)
	s_barrier
	ds_read2_b64 v[4:7], v126 offset1:119
	ds_read2_b64 v[12:15], v141 offset0:16 offset1:135
	ds_read2_b64 v[16:19], v142 offset0:32 offset1:151
	;; [unrolled: 1-line block ×6, first 2 shown]
                                        ; implicit-def: $vgpr118_vgpr119
                                        ; implicit-def: $vgpr120_vgpr121
                                        ; implicit-def: $vgpr122_vgpr123
                                        ; implicit-def: $vgpr124_vgpr125
	s_and_saveexec_b64 s[2:3], s[0:1]
	s_cbranch_execz .LBB0_17
; %bb.16:
	ds_read_b64 v[114:115], v126 offset:1904
	ds_read_b64 v[116:117], v126 offset:4080
	;; [unrolled: 1-line block ×7, first 2 shown]
.LBB0_17:
	s_or_b64 exec, exec, s[2:3]
	v_mul_f64 v[40:41], v[40:41], v[46:47]
	v_mul_f64 v[42:43], v[42:43], v[50:51]
	;; [unrolled: 1-line block ×8, first 2 shown]
	v_fma_f64 v[40:41], v[92:93], v[44:45], -v[40:41]
	v_fma_f64 v[42:43], v[94:95], v[48:49], -v[42:43]
	;; [unrolled: 1-line block ×8, first 2 shown]
	v_add_f64 v[40:41], v[68:69], -v[40:41]
	v_add_f64 v[42:43], v[70:71], -v[42:43]
	;; [unrolled: 1-line block ×8, first 2 shown]
	v_fma_f64 v[2:3], v[68:69], 2.0, -v[40:41]
	v_fma_f64 v[44:45], v[70:71], 2.0, -v[42:43]
	;; [unrolled: 1-line block ×8, first 2 shown]
	s_waitcnt lgkmcnt(0)
	s_barrier
	ds_write2_b64 v133, v[2:3], v[40:41] offset1:34
	ds_write2_b64 v134, v[44:45], v[42:43] offset1:34
	;; [unrolled: 1-line block ×8, first 2 shown]
	s_waitcnt lgkmcnt(0)
	s_barrier
	ds_read2_b64 v[0:3], v126 offset1:119
	ds_read2_b64 v[52:55], v141 offset0:16 offset1:135
	ds_read2_b64 v[48:51], v142 offset0:32 offset1:151
	ds_read2_b64 v[44:47], v143 offset0:48 offset1:167
	ds_read2_b64 v[40:43], v144 offset0:64 offset1:183
	ds_read2_b64 v[36:39], v145 offset0:80 offset1:199
	v_add_u32_e32 v32, 0x3000, v126
	ds_read2_b64 v[32:35], v32 offset0:96 offset1:215
                                        ; implicit-def: $vgpr58_vgpr59
                                        ; implicit-def: $vgpr60_vgpr61
                                        ; implicit-def: $vgpr62_vgpr63
                                        ; implicit-def: $vgpr66_vgpr67
	s_and_saveexec_b64 s[2:3], s[0:1]
	s_cbranch_execz .LBB0_19
; %bb.18:
	ds_read_b64 v[56:57], v126 offset:1904
	ds_read_b64 v[64:65], v126 offset:4080
	;; [unrolled: 1-line block ×7, first 2 shown]
.LBB0_19:
	s_or_b64 exec, exec, s[2:3]
	s_movk_i32 s2, 0x44
	v_add_u32_e32 v68, 0xffffffbc, v128
	v_cmp_gt_u32_e64 s[2:3], s2, v128
	v_cndmask_b32_e64 v195, v68, v128, s[2:3]
	v_mul_i32_i24_e32 v68, 6, v195
	v_mov_b32_e32 v69, 0
	v_lshlrev_b64 v[68:69], 4, v[68:69]
	v_mov_b32_e32 v70, s9
	v_add_co_u32_e64 v68, s[2:3], s8, v68
	v_addc_co_u32_e64 v69, s[2:3], v70, v69, s[2:3]
	s_movk_i32 s2, 0x79
	global_load_dwordx4 v[82:85], v[68:69], off offset:864
	global_load_dwordx4 v[74:77], v[68:69], off offset:848
	;; [unrolled: 1-line block ×6, first 2 shown]
	v_mul_lo_u16_sdwa v68, v131, s2 dst_sel:DWORD dst_unused:UNUSED_PAD src0_sel:BYTE_0 src1_sel:DWORD
	v_lshrrev_b16_e32 v196, 13, v68
	v_mul_lo_u16_e32 v68, 0x44, v196
	v_sub_u16_e32 v197, v131, v68
	v_mov_b32_e32 v68, 6
	v_mul_u32_u24_sdwa v68, v197, v68 dst_sel:DWORD dst_unused:UNUSED_PAD src0_sel:BYTE_0 src1_sel:DWORD
	v_lshlrev_b32_e32 v68, 4, v68
	global_load_dwordx4 v[98:101], v68, s[8:9] offset:832
	global_load_dwordx4 v[102:105], v68, s[8:9] offset:816
	;; [unrolled: 1-line block ×6, first 2 shown]
	s_mov_b32 s2, 0xf0f1
	v_mul_u32_u24_sdwa v68, v129, s2 dst_sel:DWORD dst_unused:UNUSED_PAD src0_sel:WORD_0 src1_sel:DWORD
	v_lshrrev_b32_e32 v68, 22, v68
	v_mul_lo_u16_e32 v68, 0x44, v68
	v_sub_u16_e32 v198, v129, v68
	v_mul_u32_u24_e32 v68, 6, v198
	v_lshlrev_b32_e32 v68, 4, v68
	global_load_dwordx4 v[149:152], v68, s[8:9] offset:816
	global_load_dwordx4 v[153:156], v68, s[8:9] offset:832
	;; [unrolled: 1-line block ×6, first 2 shown]
	s_mov_b32 s6, 0x37e14327
	s_mov_b32 s4, 0x36b3c0b5
	;; [unrolled: 1-line block ×20, first 2 shown]
	s_movk_i32 s2, 0x43
	v_cmp_lt_u32_e64 s[2:3], s2, v128
	s_waitcnt vmcnt(0) lgkmcnt(0)
	s_barrier
	v_mul_f64 v[173:174], v[40:41], v[84:85]
	v_mul_f64 v[106:107], v[44:45], v[76:77]
	;; [unrolled: 1-line block ×15, first 2 shown]
	v_fma_f64 v[68:69], v[12:13], v[70:71], v[68:69]
	v_mul_f64 v[191:192], v[64:65], v[151:152]
	v_mul_f64 v[151:152], v[116:117], v[151:152]
	v_fma_f64 v[78:79], v[52:53], v[70:71], -v[72:73]
	v_fma_f64 v[70:71], v[16:17], v[86:87], v[80:81]
	v_fma_f64 v[80:81], v[48:49], v[86:87], -v[88:89]
	v_fma_f64 v[72:73], v[20:21], v[74:75], v[106:107]
	;; [unrolled: 2-line block ×4, first 2 shown]
	v_fma_f64 v[88:89], v[8:9], v[90:91], v[177:178]
	v_fma_f64 v[28:29], v[38:39], v[145:146], -v[147:148]
	v_mul_f64 v[38:39], v[124:125], v[159:160]
	v_mul_f64 v[92:93], v[8:9], v[92:93]
	;; [unrolled: 1-line block ×8, first 2 shown]
	v_fma_f64 v[86:87], v[36:37], v[94:95], -v[96:97]
	v_fma_f64 v[24:25], v[42:43], v[133:134], -v[135:136]
	v_mul_f64 v[36:37], v[66:67], v[159:160]
	v_fma_f64 v[42:43], v[64:65], v[149:150], -v[151:152]
	v_fma_f64 v[38:39], v[66:67], v[157:158], -v[38:39]
	v_add_f64 v[64:65], v[68:69], v[88:89]
	v_add_f64 v[66:67], v[70:71], v[84:85]
	v_fma_f64 v[90:91], v[32:33], v[90:91], -v[92:93]
	v_fma_f64 v[16:17], v[54:55], v[102:103], -v[104:105]
	v_fma_f64 v[12:13], v[18:19], v[98:99], v[181:182]
	v_fma_f64 v[18:19], v[50:51], v[98:99], -v[100:101]
	v_fma_f64 v[20:21], v[46:47], v[137:138], -v[139:140]
	v_mul_f64 v[46:47], v[122:123], v[163:164]
	v_mul_f64 v[50:51], v[120:121], v[167:168]
	;; [unrolled: 1-line block ×3, first 2 shown]
	v_add_f64 v[92:93], v[80:81], -v[86:87]
	v_add_f64 v[94:95], v[72:73], v[76:77]
	v_add_f64 v[96:97], v[82:83], -v[74:75]
	v_add_f64 v[98:99], v[66:67], v[64:65]
	v_mul_f64 v[189:190], v[34:35], v[143:144]
	v_mul_f64 v[40:41], v[62:63], v[163:164]
	v_mul_f64 v[48:49], v[60:61], v[167:168]
	v_mul_f64 v[52:53], v[58:59], v[171:172]
	v_fma_f64 v[46:47], v[62:63], v[161:162], -v[46:47]
	v_fma_f64 v[50:51], v[60:61], v[165:166], -v[50:51]
	v_add_f64 v[60:61], v[78:79], -v[90:91]
	v_fma_f64 v[54:55], v[58:59], v[169:170], -v[54:55]
	v_add_f64 v[58:59], v[96:97], v[92:93]
	v_add_f64 v[62:63], v[94:95], v[98:99]
	v_add_f64 v[98:99], v[66:67], -v[64:65]
	v_add_f64 v[64:65], v[64:65], -v[94:95]
	;; [unrolled: 1-line block ×3, first 2 shown]
	v_mul_f64 v[143:144], v[10:11], v[143:144]
	v_fma_f64 v[8:9], v[14:15], v[102:103], v[179:180]
	v_fma_f64 v[14:15], v[22:23], v[137:138], v[183:184]
	;; [unrolled: 1-line block ×5, first 2 shown]
	v_add_f64 v[94:95], v[96:97], -v[92:93]
	v_add_f64 v[96:97], v[60:61], -v[96:97]
	;; [unrolled: 1-line block ×3, first 2 shown]
	v_add_f64 v[58:59], v[58:59], v[60:61]
	v_add_f64 v[4:5], v[4:5], v[62:63]
	v_mul_f64 v[60:61], v[64:65], s[6:7]
	v_mul_f64 v[64:65], v[66:67], s[4:5]
	;; [unrolled: 1-line block ×3, first 2 shown]
	v_fma_f64 v[30:31], v[34:35], v[141:142], -v[143:144]
	v_mul_f64 v[94:95], v[94:95], s[16:17]
	v_mul_f64 v[100:101], v[92:93], s[10:11]
	v_add_f64 v[102:103], v[12:13], v[26:27]
	v_fma_f64 v[62:63], v[62:63], s[18:19], v[4:5]
	v_fma_f64 v[66:67], v[66:67], s[4:5], v[60:61]
	v_fma_f64 v[64:65], v[98:99], s[20:21], -v[64:65]
	v_fma_f64 v[60:61], v[98:99], s[22:23], -v[60:61]
	v_add_f64 v[98:99], v[8:9], v[10:11]
	v_mul_f64 v[155:156], v[110:111], v[155:156]
	v_fma_f64 v[34:35], v[110:111], v[153:154], v[193:194]
	v_fma_f64 v[104:105], v[96:97], s[24:25], v[94:95]
	v_fma_f64 v[92:93], v[92:93], s[10:11], -v[94:95]
	v_fma_f64 v[94:95], v[96:97], s[26:27], -v[100:101]
	v_add_f64 v[66:67], v[66:67], v[62:63]
	v_add_f64 v[96:97], v[14:15], v[22:23]
	;; [unrolled: 1-line block ×5, first 2 shown]
	v_add_f64 v[62:63], v[18:19], -v[28:29]
	v_add_f64 v[106:107], v[24:25], -v[20:21]
	;; [unrolled: 1-line block ×3, first 2 shown]
	v_fma_f64 v[32:33], v[116:117], v[149:150], v[191:192]
	v_fma_f64 v[44:45], v[112:113], v[153:154], -v[155:156]
	v_fma_f64 v[52:53], v[118:119], v[169:170], v[52:53]
	v_add_f64 v[100:101], v[96:97], v[100:101]
	v_add_f64 v[112:113], v[98:99], -v[96:97]
	v_add_f64 v[96:97], v[96:97], -v[102:103]
	;; [unrolled: 1-line block ×4, first 2 shown]
	v_fma_f64 v[48:49], v[120:121], v[165:166], v[48:49]
	v_add_f64 v[98:99], v[102:103], -v[98:99]
	v_add_f64 v[62:63], v[106:107], v[62:63]
	v_add_f64 v[6:7], v[6:7], v[100:101]
	v_mul_f64 v[102:103], v[112:113], s[6:7]
	v_mul_f64 v[112:113], v[96:97], s[4:5]
	v_add_f64 v[106:107], v[110:111], -v[106:107]
	v_mul_f64 v[116:117], v[116:117], s[16:17]
	v_mul_f64 v[120:121], v[118:119], s[10:11]
	v_fma_f64 v[104:105], v[58:59], s[28:29], v[104:105]
	v_add_f64 v[62:63], v[62:63], v[110:111]
	v_fma_f64 v[100:101], v[100:101], s[18:19], v[6:7]
	v_fma_f64 v[96:97], v[96:97], s[4:5], v[102:103]
	v_fma_f64 v[110:111], v[98:99], s[20:21], -v[112:113]
	v_fma_f64 v[98:99], v[98:99], s[22:23], -v[102:103]
	v_fma_f64 v[102:103], v[106:107], s[24:25], v[116:117]
	v_fma_f64 v[106:107], v[106:107], s[26:27], -v[120:121]
	v_fma_f64 v[112:113], v[118:119], s[10:11], -v[116:117]
	v_fma_f64 v[92:93], v[58:59], s[28:29], v[92:93]
	v_fma_f64 v[58:59], v[58:59], s[28:29], v[94:95]
	v_add_f64 v[96:97], v[96:97], v[100:101]
	v_add_f64 v[110:111], v[110:111], v[100:101]
	v_add_f64 v[98:99], v[98:99], v[100:101]
	v_fma_f64 v[100:101], v[62:63], s[28:29], v[102:103]
	v_fma_f64 v[102:103], v[62:63], s[28:29], v[106:107]
	;; [unrolled: 1-line block ×3, first 2 shown]
	v_add_f64 v[94:95], v[104:105], v[66:67]
	v_add_f64 v[106:107], v[58:59], v[60:61]
	v_add_f64 v[112:113], v[64:65], -v[92:93]
	v_fma_f64 v[36:37], v[124:125], v[157:158], v[36:37]
	v_fma_f64 v[40:41], v[122:123], v[161:162], v[40:41]
	v_add_f64 v[64:65], v[92:93], v[64:65]
	v_add_f64 v[92:93], v[60:61], -v[58:59]
	v_add_f64 v[66:67], v[66:67], -v[104:105]
	v_add_f64 v[104:105], v[100:101], v[96:97]
	v_add_f64 v[116:117], v[102:103], v[98:99]
	v_add_f64 v[118:119], v[110:111], -v[62:63]
	v_add_f64 v[110:111], v[62:63], v[110:111]
	v_add_f64 v[98:99], v[98:99], -v[102:103]
	v_add_f64 v[96:97], v[96:97], -v[100:101]
	v_mov_b32_e32 v58, 0xee0
	v_cndmask_b32_e64 v58, 0, v58, s[2:3]
	v_lshlrev_b32_e32 v59, 3, v195
	v_add3_u32 v59, 0, v58, v59
	ds_write2_b64 v59, v[4:5], v[94:95] offset1:68
	ds_write2_b64 v59, v[106:107], v[112:113] offset0:136 offset1:204
	v_mov_b32_e32 v5, 3
	v_mul_u32_u24_e32 v4, 0xee0, v196
	v_lshlrev_b32_sdwa v5, v5, v197 dst_sel:DWORD dst_unused:UNUSED_PAD src0_sel:DWORD src1_sel:BYTE_0
	v_add3_u32 v61, 0, v4, v5
	v_add_u32_e32 v60, 0x800, v59
	v_add_u32_e32 v62, 0x800, v61
	v_lshl_add_u32 v58, v198, 3, 0
	ds_write2_b64 v60, v[64:65], v[92:93] offset0:16 offset1:84
	ds_write_b64 v59, v[66:67] offset:3264
	ds_write2_b64 v61, v[6:7], v[104:105] offset1:68
	ds_write2_b64 v61, v[116:117], v[118:119] offset0:136 offset1:204
	ds_write2_b64 v62, v[110:111], v[98:99] offset0:16 offset1:84
	ds_write_b64 v61, v[96:97] offset:3264
	s_and_saveexec_b64 s[2:3], s[0:1]
	s_cbranch_execz .LBB0_21
; %bb.20:
	v_add_f64 v[4:5], v[34:35], v[48:49]
	v_add_f64 v[6:7], v[32:33], v[52:53]
	v_add_f64 v[63:64], v[46:47], -v[38:39]
	v_add_f64 v[65:66], v[44:45], -v[50:51]
	v_add_f64 v[92:93], v[36:37], v[40:41]
	v_add_f64 v[94:95], v[42:43], -v[54:55]
	v_add_f64 v[96:97], v[4:5], v[6:7]
	v_add_f64 v[98:99], v[63:64], -v[65:66]
	v_add_f64 v[100:101], v[6:7], -v[92:93]
	;; [unrolled: 1-line block ×4, first 2 shown]
	v_add_f64 v[65:66], v[63:64], v[65:66]
	v_add_f64 v[63:64], v[94:95], -v[63:64]
	v_add_f64 v[92:93], v[92:93], v[96:97]
	v_add_f64 v[4:5], v[4:5], -v[6:7]
	v_mul_f64 v[6:7], v[98:99], s[16:17]
	v_mul_f64 v[96:97], v[100:101], s[6:7]
	;; [unrolled: 1-line block ×4, first 2 shown]
	v_add_f64 v[65:66], v[65:66], v[94:95]
	v_add_f64 v[100:101], v[114:115], v[92:93]
	v_fma_f64 v[94:95], v[63:64], s[24:25], v[6:7]
	v_fma_f64 v[110:111], v[4:5], s[22:23], -v[96:97]
	v_fma_f64 v[63:64], v[63:64], s[26:27], -v[98:99]
	;; [unrolled: 1-line block ×4, first 2 shown]
	v_fma_f64 v[96:97], v[104:105], s[4:5], v[96:97]
	v_fma_f64 v[92:93], v[92:93], s[18:19], v[100:101]
	;; [unrolled: 1-line block ×5, first 2 shown]
	v_add_f64 v[65:66], v[110:111], v[92:93]
	v_add_f64 v[4:5], v[4:5], v[92:93]
	v_add_f64 v[92:93], v[96:97], v[92:93]
	v_add_f64 v[96:97], v[65:66], -v[63:64]
	v_add_f64 v[98:99], v[4:5], -v[6:7]
	v_add_f64 v[102:103], v[94:95], v[92:93]
	v_add_f64 v[63:64], v[63:64], v[65:66]
	;; [unrolled: 1-line block ×3, first 2 shown]
	v_add_f64 v[6:7], v[92:93], -v[94:95]
	v_add_u32_e32 v65, 0x2800, v58
	v_add_u32_e32 v66, 0x3000, v58
	ds_write2_b64 v65, v[100:101], v[102:103] offset0:148 offset1:216
	ds_write2_b64 v66, v[63:64], v[98:99] offset0:28 offset1:96
	;; [unrolled: 1-line block ×3, first 2 shown]
	ds_write_b64 v58, v[6:7] offset:14688
.LBB0_21:
	s_or_b64 exec, exec, s[2:3]
	v_add_f64 v[4:5], v[78:79], v[90:91]
	v_add_f64 v[6:7], v[80:81], v[86:87]
	v_add_f64 v[63:64], v[68:69], -v[88:89]
	v_add_f64 v[65:66], v[70:71], -v[84:85]
	v_add_f64 v[67:68], v[74:75], v[82:83]
	v_add_f64 v[69:70], v[76:77], -v[72:73]
	v_add_f64 v[8:9], v[8:9], -v[10:11]
	v_add_f64 v[10:11], v[18:19], v[28:29]
	v_add_f64 v[18:19], v[20:21], v[24:25]
	;; [unrolled: 1-line block ×3, first 2 shown]
	v_add_f64 v[14:15], v[22:23], -v[14:15]
	v_add_f64 v[16:17], v[16:17], v[30:31]
	v_add_f64 v[20:21], v[4:5], -v[67:68]
	v_add_f64 v[24:25], v[67:68], -v[6:7]
	;; [unrolled: 1-line block ×5, first 2 shown]
	v_add_f64 v[22:23], v[67:68], v[71:72]
	v_add_f64 v[26:27], v[69:70], v[65:66]
	v_add_f64 v[30:31], v[65:66], -v[63:64]
	v_mul_f64 v[20:21], v[20:21], s[6:7]
	v_add_f64 v[28:29], v[63:64], -v[69:70]
	v_add_f64 v[67:68], v[10:11], v[16:17]
	v_add_f64 v[69:70], v[16:17], -v[18:19]
	v_mul_f64 v[6:7], v[6:7], s[16:17]
	v_add_f64 v[65:66], v[0:1], v[22:23]
	v_mul_f64 v[0:1], v[24:25], s[4:5]
	v_add_f64 v[26:27], v[26:27], v[63:64]
	v_fma_f64 v[24:25], v[24:25], s[4:5], v[20:21]
	v_mul_f64 v[63:64], v[30:31], s[10:11]
	v_add_f64 v[71:72], v[18:19], -v[10:11]
	v_add_f64 v[18:19], v[18:19], v[67:68]
	v_add_f64 v[10:11], v[10:11], -v[16:17]
	v_fma_f64 v[22:23], v[22:23], s[18:19], v[65:66]
	v_fma_f64 v[0:1], v[4:5], s[20:21], -v[0:1]
	v_fma_f64 v[4:5], v[4:5], s[22:23], -v[20:21]
	v_fma_f64 v[20:21], v[28:29], s[24:25], v[6:7]
	v_fma_f64 v[6:7], v[30:31], s[10:11], -v[6:7]
	v_add_f64 v[30:31], v[12:13], -v[8:9]
	v_fma_f64 v[28:29], v[28:29], s[26:27], -v[63:64]
	v_add_f64 v[63:64], v[2:3], v[18:19]
	v_add_f64 v[24:25], v[24:25], v[22:23]
	;; [unrolled: 1-line block ×4, first 2 shown]
	v_add_f64 v[22:23], v[14:15], -v[12:13]
	v_add_f64 v[12:13], v[14:15], v[12:13]
	v_mul_f64 v[2:3], v[69:70], s[6:7]
	v_mul_f64 v[16:17], v[71:72], s[4:5]
	v_add_f64 v[14:15], v[8:9], -v[14:15]
	v_mul_f64 v[67:68], v[30:31], s[10:11]
	v_fma_f64 v[20:21], v[26:27], s[28:29], v[20:21]
	v_fma_f64 v[6:7], v[26:27], s[28:29], v[6:7]
	v_mul_f64 v[22:23], v[22:23], s[16:17]
	v_add_f64 v[8:9], v[12:13], v[8:9]
	v_fma_f64 v[12:13], v[18:19], s[18:19], v[63:64]
	v_fma_f64 v[18:19], v[71:72], s[4:5], v[2:3]
	v_fma_f64 v[16:17], v[10:11], s[20:21], -v[16:17]
	v_fma_f64 v[2:3], v[10:11], s[22:23], -v[2:3]
	v_fma_f64 v[26:27], v[26:27], s[28:29], v[28:29]
	v_add_f64 v[71:72], v[6:7], v[0:1]
	v_fma_f64 v[10:11], v[14:15], s[24:25], v[22:23]
	v_fma_f64 v[14:15], v[14:15], s[26:27], -v[67:68]
	v_fma_f64 v[22:23], v[30:31], s[10:11], -v[22:23]
	v_add_f64 v[18:19], v[18:19], v[12:13]
	v_add_f64 v[16:17], v[16:17], v[12:13]
	;; [unrolled: 1-line block ×3, first 2 shown]
	v_add_f64 v[67:68], v[24:25], -v[20:21]
	v_add_f64 v[69:70], v[4:5], -v[26:27]
	v_fma_f64 v[10:11], v[8:9], s[28:29], v[10:11]
	v_fma_f64 v[12:13], v[8:9], s[28:29], v[14:15]
	;; [unrolled: 1-line block ×3, first 2 shown]
	v_add_f64 v[75:76], v[26:27], v[4:5]
	v_add_f64 v[77:78], v[20:21], v[24:25]
	v_add_u32_e32 v4, 0xc00, v126
	v_add_u32_e32 v20, 0x1400, v126
	v_add_f64 v[73:74], v[0:1], -v[6:7]
	v_add_f64 v[79:80], v[18:19], -v[10:11]
	v_add_f64 v[81:82], v[2:3], -v[12:13]
	v_add_f64 v[83:84], v[8:9], v[16:17]
	v_add_f64 v[85:86], v[16:17], -v[8:9]
	v_add_f64 v[87:88], v[12:13], v[2:3]
	v_add_f64 v[89:90], v[10:11], v[18:19]
	s_waitcnt lgkmcnt(0)
	s_barrier
	ds_read2_b64 v[8:11], v4 offset0:92 offset1:211
	v_add_u32_e32 v4, 0x1c00, v126
	v_add_u32_e32 v12, 0x2c00, v126
	;; [unrolled: 1-line block ×3, first 2 shown]
	ds_read2_b64 v[24:27], v20 offset0:74 offset1:193
	v_add_u32_e32 v20, 0x2400, v126
	v_add_u32_e32 v28, 0x3000, v126
	ds_read2_b64 v[0:3], v126 offset1:119
	ds_read2_b64 v[4:7], v4 offset0:56 offset1:175
	ds_read2_b64 v[12:15], v12 offset0:20 offset1:139
	;; [unrolled: 1-line block ×5, first 2 shown]
	s_waitcnt lgkmcnt(0)
	s_barrier
	ds_write2_b64 v59, v[65:66], v[67:68] offset1:68
	ds_write2_b64 v59, v[69:70], v[71:72] offset0:136 offset1:204
	ds_write2_b64 v60, v[73:74], v[75:76] offset0:16 offset1:84
	ds_write_b64 v59, v[77:78] offset:3264
	ds_write2_b64 v61, v[63:64], v[79:80] offset1:68
	ds_write2_b64 v61, v[81:82], v[83:84] offset0:136 offset1:204
	ds_write2_b64 v62, v[85:86], v[87:88] offset0:16 offset1:84
	ds_write_b64 v61, v[89:90] offset:3264
	s_and_saveexec_b64 s[2:3], s[0:1]
	s_cbranch_execz .LBB0_23
; %bb.22:
	v_add_f64 v[42:43], v[42:43], v[54:55]
	v_add_f64 v[44:45], v[44:45], v[50:51]
	;; [unrolled: 1-line block ×3, first 2 shown]
	v_add_f64 v[36:37], v[40:41], -v[36:37]
	v_add_f64 v[34:35], v[34:35], -v[48:49]
	;; [unrolled: 1-line block ×3, first 2 shown]
	s_mov_b32 s0, 0x37e14327
	s_mov_b32 s1, 0x3fe948f6
	;; [unrolled: 1-line block ×3, first 2 shown]
	v_add_f64 v[40:41], v[44:45], v[42:43]
	v_add_f64 v[46:47], v[42:43], -v[38:39]
	v_add_f64 v[42:43], v[44:45], -v[42:43]
	v_add_f64 v[48:49], v[36:37], v[34:35]
	v_add_f64 v[50:51], v[36:37], -v[34:35]
	v_add_f64 v[34:35], v[34:35], -v[32:33]
	s_mov_b32 s7, 0x3fe11646
	v_add_f64 v[36:37], v[32:33], -v[36:37]
	v_add_f64 v[40:41], v[38:39], v[40:41]
	v_add_f64 v[38:39], v[38:39], -v[44:45]
	v_mul_f64 v[46:47], v[46:47], s[0:1]
	v_add_f64 v[32:33], v[48:49], v[32:33]
	v_mul_f64 v[48:49], v[50:51], s[6:7]
	v_mul_f64 v[50:51], v[34:35], s[10:11]
	s_mov_b32 s1, 0x3fe77f67
	s_mov_b32 s0, 0x5476071b
	v_add_f64 v[52:53], v[56:57], v[40:41]
	v_mul_f64 v[44:45], v[38:39], s[4:5]
	s_mov_b32 s16, 0xaaaaaaaa
	s_mov_b32 s17, 0xbff2aaaa
	v_fma_f64 v[38:39], v[38:39], s[4:5], v[46:47]
	v_fma_f64 v[34:35], v[34:35], s[10:11], -v[48:49]
	v_fma_f64 v[40:41], v[40:41], s[16:17], v[52:53]
	v_fma_f64 v[44:45], v[42:43], s[0:1], -v[44:45]
	s_mov_b32 s1, 0xbfe77f67
	v_fma_f64 v[42:43], v[42:43], s[0:1], -v[46:47]
	s_mov_b32 s1, 0xbfd5d0dc
	s_mov_b32 s0, 0xb247c609
	v_fma_f64 v[46:47], v[36:37], s[0:1], v[48:49]
	s_mov_b32 s1, 0x3fd5d0dc
	v_fma_f64 v[36:37], v[36:37], s[0:1], -v[50:51]
	s_mov_b32 s0, 0x37c3f68c
	s_mov_b32 s1, 0xbfdc38aa
	v_add_f64 v[38:39], v[38:39], v[40:41]
	v_add_f64 v[44:45], v[44:45], v[40:41]
	;; [unrolled: 1-line block ×3, first 2 shown]
	v_fma_f64 v[42:43], v[32:33], s[0:1], v[46:47]
	v_fma_f64 v[36:37], v[32:33], s[0:1], v[36:37]
	;; [unrolled: 1-line block ×3, first 2 shown]
	v_add_f64 v[34:35], v[38:39], -v[42:43]
	v_add_f64 v[38:39], v[42:43], v[38:39]
	v_add_f64 v[46:47], v[40:41], -v[36:37]
	v_add_f64 v[48:49], v[32:33], v[44:45]
	;; [unrolled: 2-line block ×3, first 2 shown]
	v_add_u32_e32 v40, 0x2800, v58
	ds_write2_b64 v40, v[52:53], v[34:35] offset0:148 offset1:216
	v_add_u32_e32 v34, 0x3000, v58
	ds_write2_b64 v34, v[46:47], v[48:49] offset0:28 offset1:96
	ds_write2_b64 v34, v[32:33], v[36:37] offset0:164 offset1:232
	ds_write_b64 v58, v[38:39] offset:14688
.LBB0_23:
	s_or_b64 exec, exec, s[2:3]
	s_waitcnt lgkmcnt(0)
	s_barrier
	s_and_saveexec_b64 s[0:1], vcc
	s_cbranch_execz .LBB0_25
; %bb.24:
	v_mul_u32_u24_e32 v32, 3, v127
	v_lshlrev_b32_e32 v32, 4, v32
	v_mov_b32_e32 v84, s9
	v_add_co_u32_e32 v32, vcc, s8, v32
	v_addc_co_u32_e32 v33, vcc, 0, v84, vcc
	v_add_co_u32_e32 v44, vcc, 0x1cb0, v32
	v_addc_co_u32_e32 v45, vcc, 0, v33, vcc
	;; [unrolled: 2-line block ×3, first 2 shown]
	global_load_dwordx4 v[32:35], v[46:47], off offset:3248
	global_load_dwordx4 v[36:39], v[44:45], off offset:32
	;; [unrolled: 1-line block ×3, first 2 shown]
	v_mov_b32_e32 v44, 0xfffffe9b
	v_mov_b32_e32 v57, 0
	v_mad_u32_u24 v56, v127, 3, v44
	v_lshlrev_b64 v[44:45], 4, v[56:57]
	s_movk_i32 s0, 0x1cb0
	v_add_co_u32_e32 v44, vcc, s8, v44
	v_addc_co_u32_e32 v45, vcc, v84, v45, vcc
	v_add_co_u32_e32 v58, vcc, s0, v44
	s_movk_i32 s1, 0x1000
	v_addc_co_u32_e32 v59, vcc, 0, v45, vcc
	v_add_co_u32_e32 v60, vcc, s1, v44
	v_addc_co_u32_e32 v61, vcc, 0, v45, vcc
	global_load_dwordx4 v[44:47], v[58:59], off offset:16
	global_load_dwordx4 v[48:51], v[60:61], off offset:3248
	global_load_dwordx4 v[52:55], v[58:59], off offset:32
	v_mov_b32_e32 v56, 0xfffffd36
	v_mad_u32_u24 v56, v127, 3, v56
	v_lshlrev_b64 v[56:57], 4, v[56:57]
	v_mul_u32_u24_e32 v85, 3, v128
	v_add_co_u32_e32 v66, vcc, s8, v56
	v_addc_co_u32_e32 v67, vcc, v84, v57, vcc
	v_add_co_u32_e32 v64, vcc, s0, v66
	v_addc_co_u32_e32 v65, vcc, 0, v67, vcc
	global_load_dwordx4 v[56:59], v[64:65], off offset:32
	global_load_dwordx4 v[60:63], v[64:65], off offset:16
	v_add_co_u32_e32 v64, vcc, s1, v66
	v_addc_co_u32_e32 v65, vcc, 0, v67, vcc
	global_load_dwordx4 v[64:67], v[64:65], off offset:3248
	v_lshlrev_b32_e32 v85, 4, v85
	v_add_co_u32_e32 v85, vcc, s8, v85
	v_addc_co_u32_e32 v84, vcc, 0, v84, vcc
	v_add_co_u32_e32 v96, vcc, s0, v85
	v_addc_co_u32_e32 v97, vcc, 0, v84, vcc
	v_add_co_u32_e32 v98, vcc, s1, v85
	v_add_u32_e32 v68, 0x400, v126
	v_add_u32_e32 v72, 0x2400, v126
	;; [unrolled: 1-line block ×4, first 2 shown]
	v_addc_co_u32_e32 v99, vcc, 0, v84, vcc
	ds_read2_b64 v[68:71], v68 offset0:110 offset1:229
	ds_read2_b64 v[72:75], v72 offset0:38 offset1:157
	;; [unrolled: 1-line block ×4, first 2 shown]
	global_load_dwordx4 v[84:87], v[98:99], off offset:3248
	global_load_dwordx4 v[88:91], v[96:97], off offset:32
	;; [unrolled: 1-line block ×3, first 2 shown]
	s_mov_b32 s3, 0x44d72045
	s_movk_i32 s2, 0x594
	s_waitcnt vmcnt(11)
	v_mul_f64 v[100:101], v[26:27], v[34:35]
	s_waitcnt vmcnt(10)
	v_mul_f64 v[98:99], v[30:31], v[36:37]
	;; [unrolled: 2-line block ×3, first 2 shown]
	s_waitcnt lgkmcnt(2)
	v_mul_f64 v[42:43], v[74:75], v[42:43]
	v_mul_f64 v[30:31], v[30:31], v[38:39]
	;; [unrolled: 1-line block ×3, first 2 shown]
	s_waitcnt lgkmcnt(1)
	v_fma_f64 v[32:33], v[78:79], v[32:33], -v[100:101]
	s_waitcnt lgkmcnt(0)
	v_fma_f64 v[38:39], v[82:83], v[38:39], v[98:99]
	v_fma_f64 v[74:75], v[74:75], v[40:41], -v[96:97]
	v_fma_f64 v[22:23], v[22:23], v[40:41], v[42:43]
	v_fma_f64 v[30:31], v[82:83], v[36:37], -v[30:31]
	v_fma_f64 v[26:27], v[78:79], v[34:35], v[26:27]
	v_add_f64 v[36:37], v[70:71], -v[74:75]
	s_waitcnt vmcnt(8)
	v_mul_f64 v[102:103], v[20:21], v[46:47]
	s_waitcnt vmcnt(7)
	v_mul_f64 v[104:105], v[24:25], v[48:49]
	;; [unrolled: 2-line block ×3, first 2 shown]
	v_mul_f64 v[24:25], v[24:25], v[50:51]
	v_mul_f64 v[28:29], v[28:29], v[54:55]
	;; [unrolled: 1-line block ×3, first 2 shown]
	v_add_f64 v[30:31], v[32:33], -v[30:31]
	v_add_f64 v[42:43], v[18:19], -v[22:23]
	;; [unrolled: 1-line block ×3, first 2 shown]
	v_fma_f64 v[40:41], v[72:73], v[44:45], -v[102:103]
	v_fma_f64 v[38:39], v[76:77], v[50:51], v[104:105]
	v_fma_f64 v[48:49], v[76:77], v[48:49], -v[24:25]
	v_fma_f64 v[24:25], v[80:81], v[52:53], -v[28:29]
	v_fma_f64 v[46:47], v[80:81], v[54:55], v[106:107]
	v_fma_f64 v[50:51], v[70:71], 2.0, -v[36:37]
	v_fma_f64 v[28:29], v[32:33], 2.0, -v[30:31]
	v_fma_f64 v[52:53], v[18:19], 2.0, -v[42:43]
	v_fma_f64 v[26:27], v[26:27], 2.0, -v[22:23]
	v_fma_f64 v[32:33], v[20:21], v[44:45], v[34:35]
	v_add_f64 v[40:41], v[68:69], -v[40:41]
	v_add_f64 v[44:45], v[48:49], -v[24:25]
	v_add_f64 v[18:19], v[42:43], v[30:31]
	v_add_f64 v[46:47], v[38:39], -v[46:47]
	v_add_f64 v[20:21], v[36:37], -v[22:23]
	;; [unrolled: 1-line block ×5, first 2 shown]
	v_fma_f64 v[76:77], v[68:69], 2.0, -v[40:41]
	v_fma_f64 v[48:49], v[48:49], 2.0, -v[44:45]
	s_waitcnt vmcnt(5)
	v_mul_f64 v[82:83], v[14:15], v[56:57]
	v_fma_f64 v[30:31], v[42:43], 2.0, -v[18:19]
	v_add_u32_e32 v42, 0xc00, v126
	v_fma_f64 v[32:33], v[36:37], 2.0, -v[20:21]
	v_fma_f64 v[36:37], v[50:51], 2.0, -v[24:25]
	;; [unrolled: 1-line block ×5, first 2 shown]
	v_add_u32_e32 v38, 0x1c00, v126
	ds_read2_b64 v[50:53], v42 offset0:92 offset1:211
	v_add_u32_e32 v42, 0x2c00, v126
	v_add_f64 v[28:29], v[40:41], -v[46:47]
	v_add_f64 v[26:27], v[54:55], v[44:45]
	v_add_f64 v[44:45], v[76:77], -v[48:49]
	ds_read2_b64 v[46:49], v38 offset0:56 offset1:175
	ds_read2_b64 v[68:71], v42 offset0:20 offset1:139
	s_waitcnt vmcnt(4)
	v_mul_f64 v[38:39], v[6:7], v[62:63]
	s_waitcnt vmcnt(3)
	v_mul_f64 v[80:81], v[10:11], v[64:65]
	v_mul_f64 v[10:11], v[10:11], v[66:67]
	s_waitcnt lgkmcnt(1)
	v_mul_f64 v[62:63], v[48:49], v[62:63]
	s_waitcnt lgkmcnt(0)
	v_fma_f64 v[82:83], v[70:71], v[58:59], v[82:83]
	v_mul_f64 v[58:59], v[14:15], v[58:59]
	ds_read2_b64 v[72:75], v126 offset1:119
	v_add_f64 v[42:43], v[78:79], -v[16:17]
	v_fma_f64 v[48:49], v[48:49], v[60:61], -v[38:39]
	v_fma_f64 v[80:81], v[52:53], v[66:67], v[80:81]
	v_fma_f64 v[10:11], v[52:53], v[64:65], -v[10:11]
	v_fma_f64 v[6:7], v[6:7], v[60:61], v[62:63]
	s_waitcnt vmcnt(2)
	v_mul_f64 v[60:61], v[8:9], v[86:87]
	v_fma_f64 v[52:53], v[70:71], v[56:57], -v[58:59]
	s_waitcnt vmcnt(0)
	v_mul_f64 v[58:59], v[4:5], v[94:95]
	v_mul_f64 v[62:63], v[12:13], v[90:91]
	;; [unrolled: 1-line block ×5, first 2 shown]
	v_fma_f64 v[38:39], v[54:55], 2.0, -v[26:27]
	s_waitcnt lgkmcnt(0)
	v_add_f64 v[48:49], v[74:75], -v[48:49]
	v_add_f64 v[54:55], v[80:81], -v[82:83]
	v_fma_f64 v[46:47], v[46:47], v[92:93], -v[58:59]
	v_fma_f64 v[58:59], v[50:51], v[84:85], -v[60:61]
	v_fma_f64 v[50:51], v[50:51], v[86:87], v[8:9]
	v_fma_f64 v[8:9], v[4:5], v[92:93], v[64:65]
	;; [unrolled: 1-line block ×3, first 2 shown]
	v_fma_f64 v[60:61], v[68:69], v[88:89], -v[62:63]
	v_add_f64 v[56:57], v[2:3], -v[6:7]
	v_add_f64 v[52:53], v[10:11], -v[52:53]
	;; [unrolled: 1-line block ×4, first 2 shown]
	v_fma_f64 v[62:63], v[74:75], 2.0, -v[48:49]
	v_add_f64 v[66:67], v[0:1], -v[8:9]
	v_add_f64 v[12:13], v[50:51], -v[12:13]
	;; [unrolled: 1-line block ×3, first 2 shown]
	v_fma_f64 v[60:61], v[2:3], 2.0, -v[56:57]
	v_add_f64 v[4:5], v[56:57], v[52:53]
	v_fma_f64 v[52:53], v[10:11], 2.0, -v[52:53]
	v_fma_f64 v[54:55], v[80:81], 2.0, -v[54:55]
	v_fma_f64 v[68:69], v[72:73], 2.0, -v[64:65]
	v_fma_f64 v[70:71], v[0:1], 2.0, -v[66:67]
	v_fma_f64 v[50:51], v[50:51], 2.0, -v[12:13]
	v_fma_f64 v[58:59], v[58:59], 2.0, -v[46:47]
	v_add_f64 v[46:47], v[66:67], v[46:47]
	v_fma_f64 v[14:15], v[78:79], 2.0, -v[42:43]
	v_add_f64 v[2:3], v[62:63], -v[52:53]
	v_add_f64 v[0:1], v[60:61], -v[54:55]
	v_fma_f64 v[10:11], v[48:49], 2.0, -v[6:7]
	v_fma_f64 v[8:9], v[56:57], 2.0, -v[4:5]
	v_add_f64 v[54:55], v[70:71], -v[50:51]
	v_add_f64 v[48:49], v[64:65], -v[12:13]
	;; [unrolled: 1-line block ×3, first 2 shown]
	v_mad_u64_u32 v[12:13], s[0:1], s12, v128, 0
	v_fma_f64 v[52:53], v[62:63], 2.0, -v[2:3]
	v_fma_f64 v[58:59], v[66:67], 2.0, -v[46:47]
	v_mov_b32_e32 v66, s15
	v_fma_f64 v[62:63], v[70:71], 2.0, -v[54:55]
	v_add_co_u32_e32 v70, vcc, s14, v108
	v_mad_u64_u32 v[72:73], s[0:1], s13, v128, v[13:14]
	v_addc_co_u32_e32 v71, vcc, v66, v109, vcc
	v_mad_u64_u32 v[66:67], s[0:1], s12, v132, 0
	v_fma_f64 v[50:51], v[60:61], 2.0, -v[0:1]
	v_fma_f64 v[60:61], v[64:65], 2.0, -v[48:49]
	;; [unrolled: 1-line block ×3, first 2 shown]
	v_mov_b32_e32 v13, v72
	v_mad_u64_u32 v[67:68], s[0:1], s13, v132, v[67:68]
	v_add_u32_e32 v72, 0x3b8, v128
	v_lshlrev_b64 v[12:13], 4, v[12:13]
	v_mad_u64_u32 v[68:69], s[0:1], s12, v72, 0
	v_add_co_u32_e32 v12, vcc, v70, v12
	v_addc_co_u32_e32 v13, vcc, v71, v13, vcc
	global_store_dwordx4 v[12:13], v[62:65], off
	v_lshlrev_b64 v[12:13], 4, v[66:67]
	v_mov_b32_e32 v62, v69
	v_mad_u64_u32 v[62:63], s[0:1], s13, v72, v[62:63]
	v_add_co_u32_e32 v12, vcc, v70, v12
	v_addc_co_u32_e32 v13, vcc, v71, v13, vcc
	global_store_dwordx4 v[12:13], v[58:61], off
	v_mov_b32_e32 v69, v62
	v_add_u32_e32 v60, 0x594, v128
	v_lshlrev_b64 v[12:13], 4, v[68:69]
	v_mad_u64_u32 v[58:59], s[0:1], s12, v60, 0
	v_add_co_u32_e32 v12, vcc, v70, v12
	v_addc_co_u32_e32 v13, vcc, v71, v13, vcc
	global_store_dwordx4 v[12:13], v[54:57], off
	v_mov_b32_e32 v12, v59
	v_mad_u64_u32 v[12:13], s[0:1], s13, v60, v[12:13]
	v_mad_u64_u32 v[54:55], s[0:1], s12, v131, 0
	v_mov_b32_e32 v59, v12
	v_lshlrev_b64 v[12:13], 4, v[58:59]
	v_mad_u64_u32 v[55:56], s[0:1], s13, v131, v[55:56]
	v_add_co_u32_e32 v12, vcc, v70, v12
	v_addc_co_u32_e32 v13, vcc, v71, v13, vcc
	global_store_dwordx4 v[12:13], v[46:49], off
	v_lshlrev_b64 v[12:13], 4, v[54:55]
	v_mad_u64_u32 v[46:47], s[0:1], s12, v130, 0
	v_add_co_u32_e32 v12, vcc, v70, v12
	v_mad_u64_u32 v[47:48], s[0:1], s13, v130, v[47:48]
	v_addc_co_u32_e32 v13, vcc, v71, v13, vcc
	v_add_u32_e32 v54, 0x42f, v128
	v_mad_u64_u32 v[48:49], s[0:1], s12, v54, 0
	global_store_dwordx4 v[12:13], v[50:53], off
	v_lshlrev_b64 v[12:13], 4, v[46:47]
	v_mov_b32_e32 v46, v49
	v_add_co_u32_e32 v12, vcc, v70, v12
	v_addc_co_u32_e32 v13, vcc, v71, v13, vcc
	global_store_dwordx4 v[12:13], v[8:11], off
	v_add_u32_e32 v12, 0x60b, v128
	v_mad_u64_u32 v[46:47], s[0:1], s13, v54, v[46:47]
	v_mad_u64_u32 v[10:11], s[0:1], s12, v12, 0
	v_mov_b32_e32 v49, v46
	v_lshlrev_b64 v[8:9], 4, v[48:49]
	v_mad_u64_u32 v[11:12], s[0:1], s13, v12, v[11:12]
	v_mul_hi_u32 v12, v129, s3
	v_add_co_u32_e32 v8, vcc, v70, v8
	v_addc_co_u32_e32 v9, vcc, v71, v9, vcc
	global_store_dwordx4 v[8:9], v[0:3], off
	v_fma_f64 v[16:17], v[76:77], 2.0, -v[44:45]
	v_lshrrev_b32_e32 v2, 7, v12
	v_lshlrev_b64 v[0:1], 4, v[10:11]
	v_mad_u32_u24 v11, v2, s2, v129
	v_mad_u64_u32 v[2:3], s[0:1], s12, v11, 0
	v_add_u32_e32 v12, 0x1dc, v11
	v_add_co_u32_e32 v0, vcc, v70, v0
	v_mad_u64_u32 v[8:9], s[0:1], s13, v11, v[3:4]
	v_mad_u64_u32 v[9:10], s[0:1], s12, v12, 0
	v_addc_co_u32_e32 v1, vcc, v71, v1, vcc
	v_mov_b32_e32 v3, v8
	global_store_dwordx4 v[0:1], v[4:7], off
	v_lshlrev_b64 v[0:1], 4, v[2:3]
	v_mov_b32_e32 v2, v10
	v_mad_u64_u32 v[2:3], s[0:1], s13, v12, v[2:3]
	v_add_u32_e32 v4, 0x3b8, v11
	v_fma_f64 v[40:41], v[40:41], 2.0, -v[28:29]
	v_mov_b32_e32 v10, v2
	v_mad_u64_u32 v[2:3], s[0:1], s12, v4, 0
	v_add_co_u32_e32 v0, vcc, v70, v0
	v_addc_co_u32_e32 v1, vcc, v71, v1, vcc
	v_mad_u64_u32 v[3:4], s[0:1], s13, v4, v[3:4]
	v_add_u32_e32 v6, 0x594, v11
	global_store_dwordx4 v[0:1], v[14:17], off
	v_lshlrev_b64 v[0:1], 4, v[9:10]
	v_mad_u64_u32 v[4:5], s[0:1], s12, v6, 0
	v_add_co_u32_e32 v0, vcc, v70, v0
	v_addc_co_u32_e32 v1, vcc, v71, v1, vcc
	global_store_dwordx4 v[0:1], v[38:41], off
	v_lshlrev_b64 v[0:1], 4, v[2:3]
	v_mov_b32_e32 v2, v5
	v_mad_u64_u32 v[2:3], s[0:1], s13, v6, v[2:3]
	v_mul_hi_u32 v3, v127, s3
	v_add_co_u32_e32 v0, vcc, v70, v0
	v_mov_b32_e32 v5, v2
	v_lshrrev_b32_e32 v2, 7, v3
	v_mad_u32_u24 v6, v2, s2, v127
	v_mad_u64_u32 v[2:3], s[0:1], s12, v6, 0
	v_addc_co_u32_e32 v1, vcc, v71, v1, vcc
	global_store_dwordx4 v[0:1], v[42:45], off
	v_lshlrev_b64 v[0:1], 4, v[4:5]
	v_mad_u64_u32 v[3:4], s[0:1], s13, v6, v[3:4]
	v_add_u32_e32 v7, 0x1dc, v6
	v_mad_u64_u32 v[4:5], s[0:1], s12, v7, 0
	v_add_co_u32_e32 v0, vcc, v70, v0
	v_addc_co_u32_e32 v1, vcc, v71, v1, vcc
	global_store_dwordx4 v[0:1], v[26:29], off
	v_lshlrev_b64 v[0:1], 4, v[2:3]
	v_mov_b32_e32 v2, v5
	v_mad_u64_u32 v[2:3], s[0:1], s13, v7, v[2:3]
	v_add_co_u32_e32 v0, vcc, v70, v0
	v_addc_co_u32_e32 v1, vcc, v71, v1, vcc
	v_mov_b32_e32 v5, v2
	global_store_dwordx4 v[0:1], v[34:37], off
	v_lshlrev_b64 v[0:1], 4, v[4:5]
	v_add_u32_e32 v4, 0x3b8, v6
	v_mad_u64_u32 v[2:3], s[0:1], s12, v4, 0
	v_add_u32_e32 v6, 0x594, v6
	v_add_co_u32_e32 v0, vcc, v70, v0
	v_mad_u64_u32 v[3:4], s[0:1], s13, v4, v[3:4]
	v_mad_u64_u32 v[4:5], s[0:1], s12, v6, 0
	v_addc_co_u32_e32 v1, vcc, v71, v1, vcc
	global_store_dwordx4 v[0:1], v[30:33], off
	v_lshlrev_b64 v[0:1], 4, v[2:3]
	v_mov_b32_e32 v2, v5
	v_mad_u64_u32 v[2:3], s[0:1], s13, v6, v[2:3]
	v_add_co_u32_e32 v0, vcc, v70, v0
	v_addc_co_u32_e32 v1, vcc, v71, v1, vcc
	v_mov_b32_e32 v5, v2
	global_store_dwordx4 v[0:1], v[22:25], off
	v_lshlrev_b64 v[0:1], 4, v[4:5]
	v_add_co_u32_e32 v0, vcc, v70, v0
	v_addc_co_u32_e32 v1, vcc, v71, v1, vcc
	global_store_dwordx4 v[0:1], v[18:21], off
.LBB0_25:
	s_endpgm
	.section	.rodata,"a",@progbits
	.p2align	6, 0x0
	.amdhsa_kernel fft_rtc_back_len1904_factors_17_2_2_7_4_wgs_119_tpt_119_halfLds_dp_ip_CI_sbrr_dirReg
		.amdhsa_group_segment_fixed_size 0
		.amdhsa_private_segment_fixed_size 0
		.amdhsa_kernarg_size 88
		.amdhsa_user_sgpr_count 6
		.amdhsa_user_sgpr_private_segment_buffer 1
		.amdhsa_user_sgpr_dispatch_ptr 0
		.amdhsa_user_sgpr_queue_ptr 0
		.amdhsa_user_sgpr_kernarg_segment_ptr 1
		.amdhsa_user_sgpr_dispatch_id 0
		.amdhsa_user_sgpr_flat_scratch_init 0
		.amdhsa_user_sgpr_private_segment_size 0
		.amdhsa_uses_dynamic_stack 0
		.amdhsa_system_sgpr_private_segment_wavefront_offset 0
		.amdhsa_system_sgpr_workgroup_id_x 1
		.amdhsa_system_sgpr_workgroup_id_y 0
		.amdhsa_system_sgpr_workgroup_id_z 0
		.amdhsa_system_sgpr_workgroup_info 0
		.amdhsa_system_vgpr_workitem_id 0
		.amdhsa_next_free_vgpr 199
		.amdhsa_next_free_sgpr 60
		.amdhsa_reserve_vcc 1
		.amdhsa_reserve_flat_scratch 0
		.amdhsa_float_round_mode_32 0
		.amdhsa_float_round_mode_16_64 0
		.amdhsa_float_denorm_mode_32 3
		.amdhsa_float_denorm_mode_16_64 3
		.amdhsa_dx10_clamp 1
		.amdhsa_ieee_mode 1
		.amdhsa_fp16_overflow 0
		.amdhsa_exception_fp_ieee_invalid_op 0
		.amdhsa_exception_fp_denorm_src 0
		.amdhsa_exception_fp_ieee_div_zero 0
		.amdhsa_exception_fp_ieee_overflow 0
		.amdhsa_exception_fp_ieee_underflow 0
		.amdhsa_exception_fp_ieee_inexact 0
		.amdhsa_exception_int_div_zero 0
	.end_amdhsa_kernel
	.text
.Lfunc_end0:
	.size	fft_rtc_back_len1904_factors_17_2_2_7_4_wgs_119_tpt_119_halfLds_dp_ip_CI_sbrr_dirReg, .Lfunc_end0-fft_rtc_back_len1904_factors_17_2_2_7_4_wgs_119_tpt_119_halfLds_dp_ip_CI_sbrr_dirReg
                                        ; -- End function
	.section	.AMDGPU.csdata,"",@progbits
; Kernel info:
; codeLenInByte = 17484
; NumSgprs: 64
; NumVgprs: 199
; ScratchSize: 0
; MemoryBound: 1
; FloatMode: 240
; IeeeMode: 1
; LDSByteSize: 0 bytes/workgroup (compile time only)
; SGPRBlocks: 7
; VGPRBlocks: 49
; NumSGPRsForWavesPerEU: 64
; NumVGPRsForWavesPerEU: 199
; Occupancy: 1
; WaveLimiterHint : 1
; COMPUTE_PGM_RSRC2:SCRATCH_EN: 0
; COMPUTE_PGM_RSRC2:USER_SGPR: 6
; COMPUTE_PGM_RSRC2:TRAP_HANDLER: 0
; COMPUTE_PGM_RSRC2:TGID_X_EN: 1
; COMPUTE_PGM_RSRC2:TGID_Y_EN: 0
; COMPUTE_PGM_RSRC2:TGID_Z_EN: 0
; COMPUTE_PGM_RSRC2:TIDIG_COMP_CNT: 0
	.type	__hip_cuid_d6e02782a04059f8,@object ; @__hip_cuid_d6e02782a04059f8
	.section	.bss,"aw",@nobits
	.globl	__hip_cuid_d6e02782a04059f8
__hip_cuid_d6e02782a04059f8:
	.byte	0                               ; 0x0
	.size	__hip_cuid_d6e02782a04059f8, 1

	.ident	"AMD clang version 19.0.0git (https://github.com/RadeonOpenCompute/llvm-project roc-6.4.0 25133 c7fe45cf4b819c5991fe208aaa96edf142730f1d)"
	.section	".note.GNU-stack","",@progbits
	.addrsig
	.addrsig_sym __hip_cuid_d6e02782a04059f8
	.amdgpu_metadata
---
amdhsa.kernels:
  - .args:
      - .actual_access:  read_only
        .address_space:  global
        .offset:         0
        .size:           8
        .value_kind:     global_buffer
      - .offset:         8
        .size:           8
        .value_kind:     by_value
      - .actual_access:  read_only
        .address_space:  global
        .offset:         16
        .size:           8
        .value_kind:     global_buffer
      - .actual_access:  read_only
        .address_space:  global
        .offset:         24
        .size:           8
        .value_kind:     global_buffer
      - .offset:         32
        .size:           8
        .value_kind:     by_value
      - .actual_access:  read_only
        .address_space:  global
        .offset:         40
        .size:           8
        .value_kind:     global_buffer
      - .actual_access:  read_only
        .address_space:  global
        .offset:         48
        .size:           8
        .value_kind:     global_buffer
      - .offset:         56
        .size:           4
        .value_kind:     by_value
      - .actual_access:  read_only
        .address_space:  global
        .offset:         64
        .size:           8
        .value_kind:     global_buffer
      - .actual_access:  read_only
        .address_space:  global
        .offset:         72
        .size:           8
        .value_kind:     global_buffer
      - .address_space:  global
        .offset:         80
        .size:           8
        .value_kind:     global_buffer
    .group_segment_fixed_size: 0
    .kernarg_segment_align: 8
    .kernarg_segment_size: 88
    .language:       OpenCL C
    .language_version:
      - 2
      - 0
    .max_flat_workgroup_size: 119
    .name:           fft_rtc_back_len1904_factors_17_2_2_7_4_wgs_119_tpt_119_halfLds_dp_ip_CI_sbrr_dirReg
    .private_segment_fixed_size: 0
    .sgpr_count:     64
    .sgpr_spill_count: 0
    .symbol:         fft_rtc_back_len1904_factors_17_2_2_7_4_wgs_119_tpt_119_halfLds_dp_ip_CI_sbrr_dirReg.kd
    .uniform_work_group_size: 1
    .uses_dynamic_stack: false
    .vgpr_count:     199
    .vgpr_spill_count: 0
    .wavefront_size: 64
amdhsa.target:   amdgcn-amd-amdhsa--gfx906
amdhsa.version:
  - 1
  - 2
...

	.end_amdgpu_metadata
